;; amdgpu-corpus repo=ROCm/rocFFT kind=compiled arch=gfx950 opt=O3
	.text
	.amdgcn_target "amdgcn-amd-amdhsa--gfx950"
	.amdhsa_code_object_version 6
	.protected	fft_rtc_fwd_len1560_factors_13_2_2_10_3_wgs_156_tpt_156_dp_op_CI_CI_unitstride_sbrr_C2R_dirReg ; -- Begin function fft_rtc_fwd_len1560_factors_13_2_2_10_3_wgs_156_tpt_156_dp_op_CI_CI_unitstride_sbrr_C2R_dirReg
	.globl	fft_rtc_fwd_len1560_factors_13_2_2_10_3_wgs_156_tpt_156_dp_op_CI_CI_unitstride_sbrr_C2R_dirReg
	.p2align	8
	.type	fft_rtc_fwd_len1560_factors_13_2_2_10_3_wgs_156_tpt_156_dp_op_CI_CI_unitstride_sbrr_C2R_dirReg,@function
fft_rtc_fwd_len1560_factors_13_2_2_10_3_wgs_156_tpt_156_dp_op_CI_CI_unitstride_sbrr_C2R_dirReg: ; @fft_rtc_fwd_len1560_factors_13_2_2_10_3_wgs_156_tpt_156_dp_op_CI_CI_unitstride_sbrr_C2R_dirReg
; %bb.0:
	s_load_dwordx4 s[4:7], s[0:1], 0x58
	s_load_dwordx4 s[8:11], s[0:1], 0x0
	;; [unrolled: 1-line block ×3, first 2 shown]
	v_mul_u32_u24_e32 v1, 0x1a5, v0
	v_add_u32_sdwa v6, s2, v1 dst_sel:DWORD dst_unused:UNUSED_PAD src0_sel:DWORD src1_sel:WORD_1
	v_mov_b32_e32 v4, 0
	s_waitcnt lgkmcnt(0)
	v_cmp_lt_u64_e64 s[2:3], s[10:11], 2
	v_mov_b32_e32 v7, v4
	s_and_b64 vcc, exec, s[2:3]
	v_mov_b64_e32 v[2:3], 0
	s_cbranch_vccnz .LBB0_8
; %bb.1:
	s_load_dwordx2 s[2:3], s[0:1], 0x10
	s_add_u32 s16, s14, 8
	s_addc_u32 s17, s15, 0
	s_add_u32 s18, s12, 8
	s_addc_u32 s19, s13, 0
	s_waitcnt lgkmcnt(0)
	s_add_u32 s20, s2, 8
	v_mov_b64_e32 v[2:3], 0
	s_addc_u32 s21, s3, 0
	s_mov_b64 s[22:23], 1
	v_mov_b64_e32 v[80:81], v[2:3]
.LBB0_2:                                ; =>This Inner Loop Header: Depth=1
	s_load_dwordx2 s[24:25], s[20:21], 0x0
                                        ; implicit-def: $vgpr82_vgpr83
	s_waitcnt lgkmcnt(0)
	v_or_b32_e32 v5, s25, v7
	v_cmp_ne_u64_e32 vcc, 0, v[4:5]
	s_and_saveexec_b64 s[2:3], vcc
	s_xor_b64 s[26:27], exec, s[2:3]
	s_cbranch_execz .LBB0_4
; %bb.3:                                ;   in Loop: Header=BB0_2 Depth=1
	v_cvt_f32_u32_e32 v1, s24
	v_cvt_f32_u32_e32 v5, s25
	s_sub_u32 s2, 0, s24
	s_subb_u32 s3, 0, s25
	v_fmac_f32_e32 v1, 0x4f800000, v5
	v_rcp_f32_e32 v1, v1
	s_nop 0
	v_mul_f32_e32 v1, 0x5f7ffffc, v1
	v_mul_f32_e32 v5, 0x2f800000, v1
	v_trunc_f32_e32 v5, v5
	v_fmac_f32_e32 v1, 0xcf800000, v5
	v_cvt_u32_f32_e32 v5, v5
	v_cvt_u32_f32_e32 v1, v1
	v_mul_lo_u32 v8, s2, v5
	v_mul_hi_u32 v10, s2, v1
	v_mul_lo_u32 v9, s3, v1
	v_add_u32_e32 v10, v10, v8
	v_mul_lo_u32 v12, s2, v1
	v_add_u32_e32 v13, v10, v9
	v_mul_hi_u32 v8, v1, v12
	v_mul_hi_u32 v11, v1, v13
	v_mul_lo_u32 v10, v1, v13
	v_mov_b32_e32 v9, v4
	v_lshl_add_u64 v[8:9], v[8:9], 0, v[10:11]
	v_mul_hi_u32 v11, v5, v12
	v_mul_lo_u32 v12, v5, v12
	v_add_co_u32_e32 v8, vcc, v8, v12
	v_mul_hi_u32 v10, v5, v13
	s_nop 0
	v_addc_co_u32_e32 v8, vcc, v9, v11, vcc
	v_mov_b32_e32 v9, v4
	s_nop 0
	v_addc_co_u32_e32 v11, vcc, 0, v10, vcc
	v_mul_lo_u32 v10, v5, v13
	v_lshl_add_u64 v[8:9], v[8:9], 0, v[10:11]
	v_add_co_u32_e32 v1, vcc, v1, v8
	v_mul_lo_u32 v10, s2, v1
	s_nop 0
	v_addc_co_u32_e32 v5, vcc, v5, v9, vcc
	v_mul_lo_u32 v8, s2, v5
	v_mul_hi_u32 v9, s2, v1
	v_add_u32_e32 v8, v9, v8
	v_mul_lo_u32 v9, s3, v1
	v_add_u32_e32 v12, v8, v9
	v_mul_hi_u32 v14, v5, v10
	v_mul_lo_u32 v15, v5, v10
	v_mul_hi_u32 v9, v1, v12
	v_mul_lo_u32 v8, v1, v12
	v_mul_hi_u32 v10, v1, v10
	v_mov_b32_e32 v11, v4
	v_lshl_add_u64 v[8:9], v[10:11], 0, v[8:9]
	v_add_co_u32_e32 v8, vcc, v8, v15
	v_mul_hi_u32 v13, v5, v12
	s_nop 0
	v_addc_co_u32_e32 v8, vcc, v9, v14, vcc
	v_mul_lo_u32 v10, v5, v12
	s_nop 0
	v_addc_co_u32_e32 v11, vcc, 0, v13, vcc
	v_mov_b32_e32 v9, v4
	v_lshl_add_u64 v[8:9], v[8:9], 0, v[10:11]
	v_add_co_u32_e32 v1, vcc, v1, v8
	v_mul_hi_u32 v10, v6, v1
	s_nop 0
	v_addc_co_u32_e32 v5, vcc, v5, v9, vcc
	v_mad_u64_u32 v[8:9], s[2:3], v6, v5, 0
	v_mov_b32_e32 v11, v4
	v_lshl_add_u64 v[8:9], v[10:11], 0, v[8:9]
	v_mad_u64_u32 v[12:13], s[2:3], v7, v1, 0
	v_add_co_u32_e32 v1, vcc, v8, v12
	v_mad_u64_u32 v[10:11], s[2:3], v7, v5, 0
	s_nop 0
	v_addc_co_u32_e32 v8, vcc, v9, v13, vcc
	v_mov_b32_e32 v9, v4
	s_nop 0
	v_addc_co_u32_e32 v11, vcc, 0, v11, vcc
	v_lshl_add_u64 v[8:9], v[8:9], 0, v[10:11]
	v_mul_lo_u32 v1, s25, v8
	v_mul_lo_u32 v5, s24, v9
	v_mad_u64_u32 v[10:11], s[2:3], s24, v8, 0
	v_add3_u32 v1, v11, v5, v1
	v_sub_u32_e32 v5, v7, v1
	v_mov_b32_e32 v11, s25
	v_sub_co_u32_e32 v14, vcc, v6, v10
	v_lshl_add_u64 v[12:13], v[8:9], 0, 1
	s_nop 0
	v_subb_co_u32_e64 v5, s[2:3], v5, v11, vcc
	v_subrev_co_u32_e64 v10, s[2:3], s24, v14
	v_subb_co_u32_e32 v1, vcc, v7, v1, vcc
	s_nop 0
	v_subbrev_co_u32_e64 v5, s[2:3], 0, v5, s[2:3]
	v_cmp_le_u32_e64 s[2:3], s25, v5
	v_cmp_le_u32_e32 vcc, s25, v1
	s_nop 0
	v_cndmask_b32_e64 v11, 0, -1, s[2:3]
	v_cmp_le_u32_e64 s[2:3], s24, v10
	s_nop 1
	v_cndmask_b32_e64 v10, 0, -1, s[2:3]
	v_cmp_eq_u32_e64 s[2:3], s25, v5
	s_nop 1
	v_cndmask_b32_e64 v5, v11, v10, s[2:3]
	v_lshl_add_u64 v[10:11], v[8:9], 0, 2
	v_cmp_ne_u32_e64 s[2:3], 0, v5
	s_nop 1
	v_cndmask_b32_e64 v5, v13, v11, s[2:3]
	v_cndmask_b32_e64 v11, 0, -1, vcc
	v_cmp_le_u32_e32 vcc, s24, v14
	s_nop 1
	v_cndmask_b32_e64 v13, 0, -1, vcc
	v_cmp_eq_u32_e32 vcc, s25, v1
	s_nop 1
	v_cndmask_b32_e32 v1, v11, v13, vcc
	v_cmp_ne_u32_e32 vcc, 0, v1
	v_cndmask_b32_e64 v1, v12, v10, s[2:3]
	s_nop 0
	v_cndmask_b32_e32 v83, v9, v5, vcc
	v_cndmask_b32_e32 v82, v8, v1, vcc
.LBB0_4:                                ;   in Loop: Header=BB0_2 Depth=1
	s_andn2_saveexec_b64 s[2:3], s[26:27]
	s_cbranch_execz .LBB0_6
; %bb.5:                                ;   in Loop: Header=BB0_2 Depth=1
	v_cvt_f32_u32_e32 v1, s24
	s_sub_i32 s26, 0, s24
	v_mov_b32_e32 v83, v4
	v_rcp_iflag_f32_e32 v1, v1
	s_nop 0
	v_mul_f32_e32 v1, 0x4f7ffffe, v1
	v_cvt_u32_f32_e32 v1, v1
	v_mul_lo_u32 v5, s26, v1
	v_mul_hi_u32 v5, v1, v5
	v_add_u32_e32 v1, v1, v5
	v_mul_hi_u32 v1, v6, v1
	v_mul_lo_u32 v5, v1, s24
	v_sub_u32_e32 v5, v6, v5
	v_add_u32_e32 v8, 1, v1
	v_subrev_u32_e32 v9, s24, v5
	v_cmp_le_u32_e32 vcc, s24, v5
	s_nop 1
	v_cndmask_b32_e32 v5, v5, v9, vcc
	v_cndmask_b32_e32 v1, v1, v8, vcc
	v_add_u32_e32 v8, 1, v1
	v_cmp_le_u32_e32 vcc, s24, v5
	s_nop 1
	v_cndmask_b32_e32 v82, v1, v8, vcc
.LBB0_6:                                ;   in Loop: Header=BB0_2 Depth=1
	s_or_b64 exec, exec, s[2:3]
	v_mad_u64_u32 v[8:9], s[2:3], v82, s24, 0
	s_load_dwordx2 s[2:3], s[18:19], 0x0
	v_mul_lo_u32 v1, v83, s24
	v_mul_lo_u32 v5, v82, s25
	s_load_dwordx2 s[24:25], s[16:17], 0x0
	s_add_u32 s22, s22, 1
	v_add3_u32 v1, v9, v5, v1
	v_sub_co_u32_e32 v5, vcc, v6, v8
	s_addc_u32 s23, s23, 0
	s_nop 0
	v_subb_co_u32_e32 v1, vcc, v7, v1, vcc
	s_add_u32 s16, s16, 8
	s_waitcnt lgkmcnt(0)
	v_mul_lo_u32 v6, s2, v1
	v_mul_lo_u32 v7, s3, v5
	v_mad_u64_u32 v[2:3], s[2:3], s2, v5, v[2:3]
	s_addc_u32 s17, s17, 0
	v_add3_u32 v3, v7, v3, v6
	v_mul_lo_u32 v1, s24, v1
	v_mul_lo_u32 v6, s25, v5
	v_mad_u64_u32 v[80:81], s[2:3], s24, v5, v[80:81]
	s_add_u32 s18, s18, 8
	v_add3_u32 v81, v6, v81, v1
	s_addc_u32 s19, s19, 0
	v_mov_b64_e32 v[6:7], s[10:11]
	s_add_u32 s20, s20, 8
	v_cmp_ge_u64_e32 vcc, s[22:23], v[6:7]
	s_addc_u32 s21, s21, 0
	s_cbranch_vccnz .LBB0_9
; %bb.7:                                ;   in Loop: Header=BB0_2 Depth=1
	v_mov_b64_e32 v[6:7], v[82:83]
	s_branch .LBB0_2
.LBB0_8:
	v_mov_b64_e32 v[80:81], v[2:3]
	v_mov_b64_e32 v[82:83], v[6:7]
.LBB0_9:
	s_load_dwordx2 s[2:3], s[0:1], 0x28
	s_lshl_b64 s[16:17], s[10:11], 3
	s_add_u32 s10, s14, s16
	s_addc_u32 s11, s15, s17
                                        ; implicit-def: $vgpr84
	s_waitcnt lgkmcnt(0)
	v_cmp_gt_u64_e64 s[0:1], s[2:3], v[82:83]
	v_cmp_le_u64_e32 vcc, s[2:3], v[82:83]
	s_and_saveexec_b64 s[2:3], vcc
	s_xor_b64 s[2:3], exec, s[2:3]
; %bb.10:
	s_mov_b32 s14, 0x1a41a42
	v_mul_hi_u32 v1, v0, s14
	v_mul_u32_u24_e32 v1, 0x9c, v1
	v_sub_u32_e32 v84, v0, v1
                                        ; implicit-def: $vgpr0
                                        ; implicit-def: $vgpr2_vgpr3
; %bb.11:
	s_or_saveexec_b64 s[2:3], s[2:3]
	s_load_dwordx2 s[10:11], s[10:11], 0x0
	s_xor_b64 exec, exec, s[2:3]
	s_cbranch_execz .LBB0_15
; %bb.12:
	s_add_u32 s12, s12, s16
	s_addc_u32 s13, s13, s17
	s_load_dwordx2 s[12:13], s[12:13], 0x0
	s_mov_b32 s14, 0x1a41a42
	s_waitcnt lgkmcnt(0)
	v_mul_lo_u32 v1, s13, v82
	v_mul_lo_u32 v6, s12, v83
	v_mad_u64_u32 v[4:5], s[12:13], s12, v82, 0
	v_add3_u32 v5, v5, v6, v1
	v_mul_hi_u32 v1, v0, s14
	v_mul_u32_u24_e32 v1, 0x9c, v1
	v_sub_u32_e32 v84, v0, v1
	v_lshl_add_u64 v[0:1], v[4:5], 4, s[4:5]
	v_lshl_add_u64 v[2:3], v[2:3], 4, v[0:1]
	v_lshlrev_b32_e32 v0, 4, v84
	v_mov_b32_e32 v1, 0
	v_lshl_add_u64 v[36:37], v[2:3], 0, v[0:1]
	s_movk_i32 s4, 0x1000
	v_add_co_u32_e32 v20, vcc, s4, v36
	s_movk_i32 s4, 0x2000
	s_nop 0
	v_addc_co_u32_e32 v21, vcc, 0, v37, vcc
	v_add_co_u32_e32 v28, vcc, s4, v36
	s_movk_i32 s4, 0x3000
	s_nop 0
	v_addc_co_u32_e32 v29, vcc, 0, v37, vcc
	;; [unrolled: 4-line block ×3, first 2 shown]
	v_add_co_u32_e32 v44, vcc, s4, v36
	global_load_dwordx4 v[4:7], v[36:37], off
	global_load_dwordx4 v[8:11], v[36:37], off offset:2496
	v_addc_co_u32_e32 v45, vcc, 0, v37, vcc
	v_add_co_u32_e32 v46, vcc, 0x5000, v36
	global_load_dwordx4 v[12:15], v[20:21], off offset:896
	global_load_dwordx4 v[16:19], v[20:21], off offset:3392
	s_nop 0
	global_load_dwordx4 v[20:23], v[28:29], off offset:1792
	global_load_dwordx4 v[24:27], v[38:39], off offset:192
	s_nop 0
	global_load_dwordx4 v[28:31], v[38:39], off offset:2688
	global_load_dwordx4 v[32:35], v[44:45], off offset:1088
	v_addc_co_u32_e32 v47, vcc, 0, v37, vcc
	global_load_dwordx4 v[36:39], v[44:45], off offset:3584
	global_load_dwordx4 v[40:43], v[46:47], off offset:1984
	s_movk_i32 s4, 0x9b
	v_add_u32_e32 v0, 0, v0
	v_cmp_eq_u32_e32 vcc, s4, v84
	s_waitcnt vmcnt(9)
	ds_write_b128 v0, v[4:7]
	s_waitcnt vmcnt(8)
	ds_write_b128 v0, v[8:11] offset:2496
	s_waitcnt vmcnt(7)
	ds_write_b128 v0, v[12:15] offset:4992
	;; [unrolled: 2-line block ×9, first 2 shown]
	s_and_saveexec_b64 s[4:5], vcc
	s_cbranch_execz .LBB0_14
; %bb.13:
	v_add_co_u32_e32 v2, vcc, 0x6000, v2
	v_mov_b32_e32 v84, 0x9b
	s_nop 0
	v_addc_co_u32_e32 v3, vcc, 0, v3, vcc
	global_load_dwordx4 v[2:5], v[2:3], off offset:384
	s_waitcnt vmcnt(0)
	ds_write_b128 v1, v[2:5] offset:24960
.LBB0_14:
	s_or_b64 exec, exec, s[4:5]
.LBB0_15:
	s_or_b64 exec, exec, s[2:3]
	v_lshlrev_b32_e32 v0, 4, v84
	v_add_u32_e32 v224, 0, v0
	s_waitcnt lgkmcnt(0)
	s_barrier
	v_sub_u32_e32 v12, 0, v0
	ds_read_b64 v[6:7], v224
	ds_read_b64 v[8:9], v12 offset:24960
	s_add_u32 s2, s8, 0x60b0
	s_addc_u32 s3, s9, 0
	v_cmp_ne_u32_e32 vcc, 0, v84
                                        ; implicit-def: $vgpr4_vgpr5
	s_waitcnt lgkmcnt(0)
	v_add_f64 v[0:1], v[6:7], v[8:9]
	v_add_f64 v[2:3], v[6:7], -v[8:9]
	s_and_saveexec_b64 s[4:5], vcc
	s_xor_b64 s[4:5], exec, s[4:5]
	s_cbranch_execz .LBB0_17
; %bb.16:
	v_mov_b32_e32 v85, 0
	v_lshl_add_u64 v[0:1], v[84:85], 4, s[2:3]
	global_load_dwordx4 v[14:17], v[0:1], off
	ds_read_b64 v[0:1], v12 offset:24968
	ds_read_b64 v[2:3], v224 offset:8
	v_add_f64 v[4:5], v[6:7], v[8:9]
	v_add_f64 v[8:9], v[6:7], -v[8:9]
	s_waitcnt lgkmcnt(0)
	v_add_f64 v[10:11], v[0:1], v[2:3]
	v_add_f64 v[0:1], v[2:3], -v[0:1]
	s_waitcnt vmcnt(0)
	v_fma_f64 v[18:19], v[8:9], v[16:17], v[4:5]
	v_fma_f64 v[4:5], -v[8:9], v[16:17], v[4:5]
	v_fma_f64 v[6:7], v[10:11], v[16:17], -v[0:1]
	v_fma_f64 v[2:3], v[10:11], v[16:17], v[0:1]
	v_fmac_f64_e32 v[4:5], v[10:11], v[14:15]
	v_fmac_f64_e32 v[6:7], v[8:9], v[14:15]
	v_fma_f64 v[0:1], -v[10:11], v[14:15], v[18:19]
	v_fmac_f64_e32 v[2:3], v[8:9], v[14:15]
	ds_write_b128 v12, v[4:7] offset:24960
	v_mov_b64_e32 v[4:5], v[84:85]
.LBB0_17:
	s_andn2_saveexec_b64 s[4:5], s[4:5]
	s_cbranch_execz .LBB0_19
; %bb.18:
	v_mov_b32_e32 v8, 0
	ds_read_b128 v[4:7], v8 offset:12480
	s_waitcnt lgkmcnt(0)
	v_add_f64 v[4:5], v[4:5], v[4:5]
	v_mul_f64 v[6:7], v[6:7], -2.0
	ds_write_b128 v8, v[4:7] offset:12480
	v_mov_b64_e32 v[4:5], 0
.LBB0_19:
	s_or_b64 exec, exec, s[4:5]
	v_lshl_add_u64 v[4:5], v[4:5], 4, s[2:3]
	global_load_dwordx4 v[14:17], v[4:5], off offset:2496
	v_add_u32_e32 v88, 0x138, v84
	v_mov_b32_e32 v89, 0
	v_lshl_add_u64 v[6:7], v[88:89], 4, s[2:3]
	global_load_dwordx4 v[18:21], v[6:7], off
	v_add_u32_e32 v86, 0x1d4, v84
	v_mov_b32_e32 v87, v89
	v_lshl_add_u64 v[6:7], v[86:87], 4, s[2:3]
	global_load_dwordx4 v[8:11], v[6:7], off
	s_movk_i32 s2, 0x2000
	v_add_co_u32_e32 v4, vcc, s2, v4
	ds_write_b128 v224, v[0:3]
	s_nop 0
	v_addc_co_u32_e32 v5, vcc, 0, v5, vcc
	global_load_dwordx4 v[4:7], v[4:5], off offset:1792
	ds_read_b128 v[0:3], v224 offset:2496
	ds_read_b128 v[22:25], v12 offset:22464
	v_lshl_add_u32 v85, v88, 4, 0
	v_lshl_add_u32 v87, v86, 4, 0
	s_mov_b32 s4, 0x42a4c3d2
	s_mov_b32 s2, 0x1ea71119
	s_waitcnt lgkmcnt(0)
	v_add_f64 v[26:27], v[0:1], v[22:23]
	v_add_f64 v[28:29], v[24:25], v[2:3]
	v_add_f64 v[30:31], v[0:1], -v[22:23]
	v_add_f64 v[0:1], v[2:3], -v[24:25]
	s_mov_b32 s5, 0xbfea55e2
	s_mov_b32 s14, 0x2ef20147
	;; [unrolled: 1-line block ×28, first 2 shown]
	s_movk_i32 s22, 0x78
	v_cmp_gt_u32_e32 vcc, s22, v84
	s_waitcnt vmcnt(3)
	v_fma_f64 v[32:33], v[30:31], v[16:17], v[26:27]
	v_fma_f64 v[2:3], v[28:29], v[16:17], v[0:1]
	v_fma_f64 v[22:23], -v[30:31], v[16:17], v[26:27]
	v_fma_f64 v[24:25], v[28:29], v[16:17], -v[0:1]
	v_fma_f64 v[0:1], -v[28:29], v[14:15], v[32:33]
	v_fmac_f64_e32 v[2:3], v[30:31], v[14:15]
	v_fmac_f64_e32 v[22:23], v[28:29], v[14:15]
	;; [unrolled: 1-line block ×3, first 2 shown]
	ds_write_b128 v224, v[0:3] offset:2496
	ds_write_b128 v12, v[22:25] offset:22464
	ds_read_b128 v[0:3], v85
	ds_read_b128 v[14:17], v12 offset:19968
	s_waitcnt lgkmcnt(0)
	v_add_f64 v[22:23], v[0:1], v[14:15]
	v_add_f64 v[24:25], v[16:17], v[2:3]
	v_add_f64 v[26:27], v[0:1], -v[14:15]
	v_add_f64 v[0:1], v[2:3], -v[16:17]
	s_waitcnt vmcnt(2)
	v_fma_f64 v[28:29], v[26:27], v[20:21], v[22:23]
	v_fma_f64 v[2:3], v[24:25], v[20:21], v[0:1]
	v_fma_f64 v[14:15], -v[26:27], v[20:21], v[22:23]
	v_fma_f64 v[16:17], v[24:25], v[20:21], -v[0:1]
	v_fma_f64 v[0:1], -v[24:25], v[18:19], v[28:29]
	v_fmac_f64_e32 v[2:3], v[26:27], v[18:19]
	v_fmac_f64_e32 v[14:15], v[24:25], v[18:19]
	;; [unrolled: 1-line block ×3, first 2 shown]
	ds_write_b128 v85, v[0:3]
	ds_write_b128 v12, v[14:17] offset:19968
	ds_read_b128 v[0:3], v87
	ds_read_b128 v[14:17], v12 offset:17472
	s_waitcnt lgkmcnt(0)
	v_add_f64 v[18:19], v[0:1], v[14:15]
	v_add_f64 v[20:21], v[16:17], v[2:3]
	v_add_f64 v[22:23], v[0:1], -v[14:15]
	v_add_f64 v[0:1], v[2:3], -v[16:17]
	s_waitcnt vmcnt(1)
	v_fma_f64 v[24:25], v[22:23], v[10:11], v[18:19]
	v_fma_f64 v[2:3], v[20:21], v[10:11], v[0:1]
	v_fma_f64 v[14:15], -v[22:23], v[10:11], v[18:19]
	v_fma_f64 v[16:17], v[20:21], v[10:11], -v[0:1]
	v_fma_f64 v[0:1], -v[20:21], v[8:9], v[24:25]
	v_fmac_f64_e32 v[2:3], v[22:23], v[8:9]
	v_fmac_f64_e32 v[14:15], v[20:21], v[8:9]
	;; [unrolled: 1-line block ×3, first 2 shown]
	ds_write_b128 v87, v[0:3]
	ds_write_b128 v12, v[14:17] offset:17472
	ds_read_b128 v[0:3], v224 offset:9984
	ds_read_b128 v[8:11], v12 offset:14976
	s_waitcnt lgkmcnt(0)
	v_add_f64 v[14:15], v[0:1], v[8:9]
	v_add_f64 v[16:17], v[10:11], v[2:3]
	v_add_f64 v[18:19], v[0:1], -v[8:9]
	v_add_f64 v[0:1], v[2:3], -v[10:11]
	s_waitcnt vmcnt(0)
	v_fma_f64 v[20:21], v[18:19], v[6:7], v[14:15]
	v_fma_f64 v[2:3], v[16:17], v[6:7], v[0:1]
	v_fma_f64 v[8:9], -v[18:19], v[6:7], v[14:15]
	v_fma_f64 v[10:11], v[16:17], v[6:7], -v[0:1]
	v_fma_f64 v[0:1], -v[16:17], v[4:5], v[20:21]
	v_fmac_f64_e32 v[2:3], v[18:19], v[4:5]
	v_fmac_f64_e32 v[8:9], v[16:17], v[4:5]
	;; [unrolled: 1-line block ×3, first 2 shown]
	ds_write_b128 v224, v[0:3] offset:9984
	ds_write_b128 v12, v[8:11] offset:14976
	s_waitcnt lgkmcnt(0)
	s_barrier
	s_barrier
	ds_read_b128 v[16:19], v224
	ds_read_b128 v[20:23], v224 offset:1920
	ds_read_b128 v[8:11], v224 offset:23040
	;; [unrolled: 1-line block ×6, first 2 shown]
	s_waitcnt lgkmcnt(4)
	v_add_f64 v[98:99], v[22:23], -v[10:11]
	ds_read_b128 v[36:39], v224 offset:17280
	ds_read_b128 v[40:43], v224 offset:7680
	v_add_f64 v[90:91], v[20:21], v[8:9]
	v_add_f64 v[94:95], v[20:21], -v[8:9]
	s_waitcnt lgkmcnt(3)
	v_add_f64 v[102:103], v[26:27], -v[14:15]
	v_mul_f64 v[112:113], v[98:99], s[4:5]
	v_add_f64 v[104:105], v[22:23], v[10:11]
	v_add_f64 v[92:93], v[24:25], v[12:13]
	v_add_f64 v[96:97], v[24:25], -v[12:13]
	v_mul_f64 v[116:117], v[94:95], s[4:5]
	v_mul_f64 v[114:115], v[102:103], s[14:15]
	v_fma_f64 v[0:1], s[2:3], v[90:91], v[112:113]
	ds_read_b128 v[44:47], v224 offset:9600
	ds_read_b128 v[48:51], v224 offset:15360
	v_add_f64 v[106:107], v[26:27], v[14:15]
	v_fma_f64 v[2:3], s[12:13], v[92:93], v[114:115]
	v_fma_f64 v[4:5], v[104:105], s[2:3], -v[116:117]
	v_add_f64 v[0:1], v[16:17], v[0:1]
	v_mul_f64 v[120:121], v[96:97], s[14:15]
	s_waitcnt lgkmcnt(4)
	v_add_f64 v[110:111], v[30:31], -v[34:35]
	v_add_f64 v[0:1], v[2:3], v[0:1]
	v_add_f64 v[2:3], v[18:19], v[4:5]
	v_fma_f64 v[4:5], v[106:107], s[12:13], -v[120:121]
	v_add_f64 v[100:101], v[28:29], v[32:33]
	v_mul_f64 v[124:125], v[110:111], s[18:19]
	v_add_f64 v[108:109], v[28:29], -v[32:33]
	ds_read_b128 v[52:55], v224 offset:11520
	ds_read_b128 v[56:59], v224 offset:13440
	v_add_f64 v[2:3], v[4:5], v[2:3]
	v_fma_f64 v[4:5], s[16:17], v[100:101], v[124:125]
	v_add_f64 v[118:119], v[30:31], v[34:35]
	v_mul_f64 v[128:129], v[108:109], s[18:19]
	s_waitcnt lgkmcnt(4)
	v_add_f64 v[132:133], v[42:43], -v[38:39]
	v_add_f64 v[0:1], v[4:5], v[0:1]
	v_fma_f64 v[4:5], v[118:119], s[16:17], -v[128:129]
	v_add_f64 v[122:123], v[40:41], v[36:37]
	v_mul_f64 v[144:145], v[132:133], s[26:27]
	v_add_f64 v[130:131], v[40:41], -v[36:37]
	v_add_f64 v[2:3], v[4:5], v[2:3]
	v_fma_f64 v[4:5], s[20:21], v[122:123], v[144:145]
	v_add_f64 v[140:141], v[42:43], v[38:39]
	v_mul_f64 v[152:153], v[130:131], s[26:27]
	s_waitcnt lgkmcnt(2)
	v_add_f64 v[138:139], v[46:47], -v[50:51]
	v_add_f64 v[0:1], v[4:5], v[0:1]
	v_fma_f64 v[4:5], v[140:141], s[20:21], -v[152:153]
	v_add_f64 v[126:127], v[44:45], v[48:49]
	v_mul_f64 v[150:151], v[138:139], s[34:35]
	v_add_f64 v[136:137], v[44:45], -v[48:49]
	;; [unrolled: 11-line block ×3, first 2 shown]
	v_add_f64 v[2:3], v[4:5], v[2:3]
	v_fma_f64 v[4:5], s[30:31], v[134:135], v[158:159]
	v_add_f64 v[154:155], v[54:55], v[58:59]
	v_mul_f64 v[160:161], v[142:143], s[36:37]
	v_add_f64 v[0:1], v[4:5], v[0:1]
	v_fma_f64 v[4:5], v[154:155], s[30:31], -v[160:161]
	v_mul_f64 v[162:163], v[98:99], s[28:29]
	v_add_f64 v[2:3], v[4:5], v[2:3]
	v_fma_f64 v[4:5], s[24:25], v[90:91], v[162:163]
	v_mul_f64 v[164:165], v[102:103], s[18:19]
	v_add_f64 v[4:5], v[16:17], v[4:5]
	v_fma_f64 v[6:7], s[16:17], v[92:93], v[164:165]
	v_mul_f64 v[168:169], v[94:95], s[28:29]
	v_add_f64 v[4:5], v[6:7], v[4:5]
	v_fma_f64 v[6:7], v[104:105], s[24:25], -v[168:169]
	v_mul_f64 v[172:173], v[96:97], s[18:19]
	v_add_f64 v[6:7], v[18:19], v[6:7]
	v_fma_f64 v[60:61], v[106:107], s[16:17], -v[172:173]
	v_mul_f64 v[166:167], v[110:111], s[40:41]
	v_add_f64 v[6:7], v[60:61], v[6:7]
	v_fma_f64 v[60:61], s[12:13], v[100:101], v[166:167]
	v_mul_f64 v[180:181], v[108:109], s[40:41]
	v_add_f64 v[4:5], v[60:61], v[4:5]
	v_fma_f64 v[60:61], v[118:119], s[12:13], -v[180:181]
	v_mul_f64 v[170:171], v[132:133], s[36:37]
	v_add_f64 v[6:7], v[60:61], v[6:7]
	v_fma_f64 v[60:61], s[30:31], v[122:123], v[170:171]
	;; [unrolled: 6-line block ×4, first 2 shown]
	v_mul_f64 v[204:205], v[142:143], s[38:39]
	v_add_f64 v[4:5], v[60:61], v[4:5]
	v_fma_f64 v[60:61], v[154:155], s[20:21], -v[204:205]
	v_add_f64 v[6:7], v[60:61], v[6:7]
	s_barrier
	s_and_saveexec_b64 s[22:23], vcc
	s_cbranch_execz .LBB0_21
; %bb.20:
	v_mul_f64 v[226:227], v[104:105], s[16:17]
	s_mov_b32 s45, 0x3fcea1e5
	s_mov_b32 s44, s18
	v_mul_f64 v[76:77], v[106:107], s[30:31]
	s_mov_b32 s43, 0xbfddbe06
	s_mov_b32 s42, s36
	v_fma_f64 v[228:229], s[44:45], v[94:95], v[226:227]
	v_mul_f64 v[240:241], v[98:99], s[18:19]
	v_mul_f64 v[72:73], v[118:119], s[20:21]
	v_fma_f64 v[78:79], s[42:43], v[96:97], v[76:77]
	v_add_f64 v[228:229], v[18:19], v[228:229]
	v_mul_f64 v[236:237], v[102:103], s[36:37]
	v_fma_f64 v[242:243], s[16:17], v[90:91], v[240:241]
	v_mul_f64 v[68:69], v[140:141], s[2:3]
	v_fma_f64 v[74:75], s[26:27], v[108:109], v[72:73]
	v_add_f64 v[78:79], v[78:79], v[228:229]
	s_mov_b32 s47, 0x3fea55e2
	s_mov_b32 s46, s4
	v_mul_f64 v[232:233], v[110:111], s[38:39]
	v_fma_f64 v[238:239], s[30:31], v[92:93], v[236:237]
	v_add_f64 v[242:243], v[16:17], v[242:243]
	v_mul_f64 v[66:67], v[146:147], s[12:13]
	v_fma_f64 v[70:71], s[4:5], v[130:131], v[68:69]
	v_add_f64 v[74:75], v[74:75], v[78:79]
	;; [unrolled: 3-line block ×5, first 2 shown]
	v_fma_f64 v[60:61], s[28:29], v[142:143], v[64:65]
	v_add_f64 v[62:63], v[62:63], v[70:71]
	v_mul_f64 v[70:71], v[148:149], s[34:35]
	v_fma_f64 v[78:79], s[12:13], v[126:127], v[74:75]
	v_add_f64 v[230:231], v[230:231], v[234:235]
	v_add_f64 v[62:63], v[60:61], v[62:63]
	v_fma_f64 v[60:61], s[24:25], v[134:135], v[70:71]
	v_add_f64 v[78:79], v[78:79], v[230:231]
	v_fmac_f64_e32 v[226:227], s[18:19], v[94:95]
	v_add_f64 v[60:61], v[60:61], v[78:79]
	v_fmac_f64_e32 v[76:77], s[36:37], v[96:97]
	;; [unrolled: 2-line block ×5, first 2 shown]
	v_add_f64 v[68:69], v[68:69], v[72:73]
	v_fma_f64 v[76:77], v[90:91], s[16:17], -v[240:241]
	v_mul_f64 v[234:235], v[104:105], s[20:21]
	v_add_f64 v[66:67], v[66:67], v[68:69]
	v_fma_f64 v[68:69], v[126:127], s[12:13], -v[74:75]
	v_fma_f64 v[74:75], v[92:93], s[30:31], -v[236:237]
	v_add_f64 v[76:77], v[16:17], v[76:77]
	v_mul_f64 v[230:231], v[106:107], s[24:25]
	v_fma_f64 v[236:237], s[26:27], v[94:95], v[234:235]
	v_mul_f64 v[248:249], v[98:99], s[38:39]
	v_fmac_f64_e32 v[64:65], s[34:35], v[142:143]
	v_fma_f64 v[72:73], v[100:101], s[20:21], -v[232:233]
	v_add_f64 v[74:75], v[74:75], v[76:77]
	v_mul_f64 v[226:227], v[118:119], s[2:3]
	v_fma_f64 v[232:233], s[28:29], v[96:97], v[230:231]
	v_add_f64 v[236:237], v[18:19], v[236:237]
	v_mul_f64 v[244:245], v[102:103], s[34:35]
	v_fma_f64 v[250:251], s[20:21], v[90:91], v[248:249]
	v_add_f64 v[66:67], v[64:65], v[66:67]
	v_fma_f64 v[64:65], v[134:135], s[24:25], -v[70:71]
	v_fma_f64 v[70:71], v[122:123], s[2:3], -v[228:229]
	v_add_f64 v[72:73], v[72:73], v[74:75]
	v_mul_f64 v[76:77], v[140:141], s[16:17]
	v_fma_f64 v[228:229], s[46:47], v[108:109], v[226:227]
	v_add_f64 v[232:233], v[232:233], v[236:237]
	v_mul_f64 v[240:241], v[110:111], s[4:5]
	v_fma_f64 v[246:247], s[24:25], v[92:93], v[244:245]
	v_add_f64 v[250:251], v[16:17], v[250:251]
	v_add_f64 v[70:71], v[70:71], v[72:73]
	v_mul_f64 v[74:75], v[146:147], s[30:31]
	v_fma_f64 v[78:79], s[18:19], v[130:131], v[76:77]
	v_add_f64 v[228:229], v[228:229], v[232:233]
	v_mul_f64 v[236:237], v[132:133], s[44:45]
	v_fma_f64 v[242:243], s[2:3], v[100:101], v[240:241]
	v_add_f64 v[246:247], v[246:247], v[250:251]
	;; [unrolled: 7-line block ×3, first 2 shown]
	v_mul_f64 v[184:185], v[104:105], s[2:3]
	v_add_f64 v[64:65], v[64:65], v[68:69]
	v_fma_f64 v[68:69], s[40:41], v[142:143], v[72:73]
	v_add_f64 v[70:71], v[70:71], v[78:79]
	v_mul_f64 v[78:79], v[148:149], s[14:15]
	v_fma_f64 v[232:233], s[30:31], v[126:127], v[228:229]
	v_add_f64 v[238:239], v[238:239], v[242:243]
	v_mul_f64 v[192:193], v[106:107], s[12:13]
	v_add_f64 v[70:71], v[68:69], v[70:71]
	v_fma_f64 v[68:69], s[12:13], v[134:135], v[78:79]
	v_add_f64 v[232:233], v[232:233], v[238:239]
	v_fmac_f64_e32 v[234:235], s[38:39], v[94:95]
	v_add_f64 v[116:117], v[116:117], v[184:185]
	v_mul_f64 v[198:199], v[118:119], s[16:17]
	v_add_f64 v[68:69], v[68:69], v[232:233]
	v_fmac_f64_e32 v[230:231], s[34:35], v[96:97]
	v_add_f64 v[232:233], v[18:19], v[234:235]
	v_add_f64 v[120:121], v[120:121], v[192:193]
	v_add_f64 v[116:117], v[18:19], v[116:117]
	v_mul_f64 v[202:203], v[140:141], s[20:21]
	v_fmac_f64_e32 v[226:227], s[4:5], v[108:109]
	v_add_f64 v[230:231], v[230:231], v[232:233]
	v_add_f64 v[128:129], v[128:129], v[198:199]
	;; [unrolled: 1-line block ×3, first 2 shown]
	v_fmac_f64_e32 v[76:77], s[44:45], v[130:131]
	v_add_f64 v[226:227], v[226:227], v[230:231]
	v_add_f64 v[152:153], v[152:153], v[202:203]
	;; [unrolled: 1-line block ×3, first 2 shown]
	v_mul_f64 v[212:213], v[104:105], s[24:25]
	v_fmac_f64_e32 v[74:75], s[36:37], v[136:137]
	v_add_f64 v[76:77], v[76:77], v[226:227]
	v_mul_f64 v[242:243], v[104:105], s[12:13]
	v_add_f64 v[116:117], v[152:153], v[116:117]
	v_mul_f64 v[152:153], v[104:105], s[30:31]
	v_add_f64 v[74:75], v[74:75], v[76:77]
	v_fma_f64 v[76:77], v[126:127], s[30:31], -v[228:229]
	v_fma_f64 v[228:229], v[92:93], s[24:25], -v[244:245]
	v_fma_f64 v[244:245], s[40:41], v[94:95], v[242:243]
	v_fmac_f64_e32 v[242:243], s[14:15], v[94:95]
	v_add_f64 v[168:169], v[168:169], v[212:213]
	v_fma_f64 v[104:105], s[36:37], v[94:95], v[152:153]
	v_fmac_f64_e32 v[152:153], s[42:43], v[94:95]
	v_add_f64 v[244:245], v[18:19], v[244:245]
	v_add_f64 v[242:243], v[18:19], v[242:243]
	;; [unrolled: 1-line block ×8, first 2 shown]
	v_fma_f64 v[230:231], v[90:91], s[20:21], -v[248:249]
	v_add_f64 v[18:19], v[18:19], v[42:43]
	v_add_f64 v[230:231], v[16:17], v[230:231]
	v_mul_f64 v[238:239], v[106:107], s[20:21]
	v_add_f64 v[18:19], v[18:19], v[46:47]
	v_fmac_f64_e32 v[72:73], s[14:15], v[142:143]
	v_fma_f64 v[226:227], v[100:101], s[2:3], -v[240:241]
	v_add_f64 v[228:229], v[228:229], v[230:231]
	v_mul_f64 v[234:235], v[118:119], s[30:31]
	v_fma_f64 v[240:241], s[38:39], v[96:97], v[238:239]
	v_add_f64 v[18:19], v[18:19], v[54:55]
	v_add_f64 v[74:75], v[72:73], v[74:75]
	v_fma_f64 v[72:73], v[134:135], s[12:13], -v[78:79]
	v_fma_f64 v[78:79], v[122:123], s[16:17], -v[236:237]
	v_add_f64 v[226:227], v[226:227], v[228:229]
	v_mul_f64 v[230:231], v[140:141], s[24:25]
	v_fma_f64 v[236:237], s[42:43], v[108:109], v[234:235]
	v_add_f64 v[240:241], v[240:241], v[244:245]
	v_add_f64 v[18:19], v[18:19], v[58:59]
	;; [unrolled: 1-line block ×3, first 2 shown]
	v_mul_f64 v[228:229], v[146:147], s[16:17]
	v_fma_f64 v[232:233], s[34:35], v[130:131], v[230:231]
	v_add_f64 v[236:237], v[236:237], v[240:241]
	v_add_f64 v[18:19], v[18:19], v[50:51]
	;; [unrolled: 1-line block ×3, first 2 shown]
	v_mul_f64 v[226:227], v[154:155], s[2:3]
	v_fma_f64 v[78:79], s[18:19], v[136:137], v[228:229]
	v_add_f64 v[232:233], v[232:233], v[236:237]
	v_mul_f64 v[248:249], v[98:99], s[14:15]
	v_add_f64 v[18:19], v[18:19], v[38:39]
	v_add_f64 v[72:73], v[72:73], v[76:77]
	v_fma_f64 v[76:77], s[4:5], v[142:143], v[226:227]
	v_add_f64 v[78:79], v[78:79], v[232:233]
	v_mul_f64 v[246:247], v[102:103], s[26:27]
	v_fma_f64 v[250:251], s[12:13], v[90:91], v[248:249]
	v_add_f64 v[18:19], v[18:19], v[34:35]
	v_mul_f64 v[174:175], v[90:91], s[2:3]
	v_add_f64 v[78:79], v[76:77], v[78:79]
	v_mul_f64 v[244:245], v[110:111], s[36:37]
	v_fma_f64 v[76:77], s[20:21], v[92:93], v[246:247]
	v_add_f64 v[250:251], v[16:17], v[250:251]
	v_add_f64 v[14:15], v[18:19], v[14:15]
	v_mul_f64 v[176:177], v[92:93], s[12:13]
	v_mul_f64 v[240:241], v[132:133], s[28:29]
	v_add_f64 v[76:77], v[76:77], v[250:251]
	v_fma_f64 v[250:251], s[30:31], v[100:101], v[244:245]
	v_add_f64 v[112:113], v[174:175], -v[112:113]
	v_add_f64 v[10:11], v[14:15], v[10:11]
	v_add_f64 v[14:15], v[16:17], v[20:21]
	v_mul_f64 v[182:183], v[100:101], s[16:17]
	v_mul_f64 v[236:237], v[138:139], s[44:45]
	v_add_f64 v[76:77], v[250:251], v[76:77]
	v_fma_f64 v[250:251], s[24:25], v[122:123], v[240:241]
	v_add_f64 v[114:115], v[176:177], -v[114:115]
	v_add_f64 v[112:113], v[16:17], v[112:113]
	v_add_f64 v[14:15], v[14:15], v[24:25]
	v_mul_f64 v[216:217], v[106:107], s[16:17]
	v_mul_f64 v[186:187], v[122:123], s[20:21]
	;; [unrolled: 1-line block ×4, first 2 shown]
	v_add_f64 v[76:77], v[250:251], v[76:77]
	v_fma_f64 v[250:251], s[16:17], v[126:127], v[236:237]
	v_fmac_f64_e32 v[238:239], s[26:27], v[96:97]
	v_add_f64 v[124:125], v[182:183], -v[124:125]
	v_add_f64 v[112:113], v[114:115], v[112:113]
	v_mul_f64 v[106:107], v[106:107], s[2:3]
	v_add_f64 v[14:15], v[14:15], v[28:29]
	v_mul_f64 v[220:221], v[118:119], s[12:13]
	v_add_f64 v[76:77], v[250:251], v[76:77]
	v_fma_f64 v[250:251], s[2:3], v[134:135], v[232:233]
	v_add_f64 v[238:239], v[238:239], v[242:243]
	v_fmac_f64_e32 v[234:235], s[36:37], v[108:109]
	v_add_f64 v[128:129], v[194:195], -v[150:151]
	v_add_f64 v[144:145], v[186:187], -v[144:145]
	v_add_f64 v[112:113], v[124:125], v[112:113]
	v_mul_f64 v[118:119], v[118:119], s[24:25]
	v_fma_f64 v[150:151], s[46:47], v[96:97], v[106:107]
	v_add_f64 v[14:15], v[14:15], v[40:41]
	v_mul_f64 v[222:223], v[140:141], s[30:31]
	v_mul_f64 v[208:209], v[146:147], s[24:25]
	v_add_f64 v[76:77], v[250:251], v[76:77]
	v_mul_f64 v[250:251], v[146:147], s[2:3]
	v_mul_f64 v[252:253], v[134:135], s[30:31]
	v_add_f64 v[234:235], v[234:235], v[238:239]
	v_fmac_f64_e32 v[230:231], s[28:29], v[130:131]
	v_add_f64 v[112:113], v[144:145], v[112:113]
	v_mul_f64 v[124:125], v[146:147], s[20:21]
	v_mul_f64 v[140:141], v[140:141], s[12:13]
	v_fma_f64 v[146:147], s[34:35], v[108:109], v[118:119]
	v_add_f64 v[104:105], v[150:151], v[104:105]
	v_add_f64 v[14:15], v[14:15], v[44:45]
	v_mul_f64 v[200:201], v[90:91], s[24:25]
	v_add_f64 v[230:231], v[230:231], v[234:235]
	v_fmac_f64_e32 v[228:229], s[44:45], v[136:137]
	v_add_f64 v[120:121], v[252:253], -v[158:159]
	v_add_f64 v[112:113], v[128:129], v[112:113]
	v_fma_f64 v[144:145], s[40:41], v[130:131], v[140:141]
	v_add_f64 v[104:105], v[146:147], v[104:105]
	v_mul_f64 v[98:99], v[98:99], s[42:43]
	v_add_f64 v[14:15], v[14:15], v[52:53]
	v_mul_f64 v[206:207], v[92:93], s[16:17]
	v_mul_f64 v[242:243], v[154:155], s[30:31]
	;; [unrolled: 1-line block ×3, first 2 shown]
	v_fmac_f64_e32 v[226:227], s[46:47], v[142:143]
	v_add_f64 v[228:229], v[228:229], v[230:231]
	v_fma_f64 v[230:231], v[126:127], s[16:17], -v[236:237]
	v_fma_f64 v[236:237], v[100:101], s[30:31], -v[244:245]
	;; [unrolled: 1-line block ×3, first 2 shown]
	v_add_f64 v[162:163], v[200:201], -v[162:163]
	v_add_f64 v[114:115], v[120:121], v[112:113]
	v_mul_f64 v[112:113], v[154:155], s[16:17]
	v_fma_f64 v[128:129], s[26:27], v[136:137], v[124:125]
	v_add_f64 v[104:105], v[144:145], v[104:105]
	v_mul_f64 v[150:151], v[102:103], s[4:5]
	v_fma_f64 v[154:155], s[30:31], v[90:91], v[98:99]
	v_fma_f64 v[90:91], v[90:91], s[30:31], -v[98:99]
	v_add_f64 v[14:15], v[14:15], v[56:57]
	v_mul_f64 v[210:211], v[100:101], s[12:13]
	v_add_f64 v[228:229], v[226:227], v[228:229]
	v_fma_f64 v[226:227], v[134:135], s[2:3], -v[232:233]
	v_fma_f64 v[232:233], v[122:123], s[24:25], -v[240:241]
	;; [unrolled: 1-line block ×3, first 2 shown]
	v_add_f64 v[244:245], v[16:17], v[244:245]
	v_add_f64 v[172:173], v[172:173], v[216:217]
	v_add_f64 v[164:165], v[206:207], -v[164:165]
	v_add_f64 v[162:163], v[16:17], v[162:163]
	v_fma_f64 v[120:121], s[44:45], v[142:143], v[112:113]
	v_add_f64 v[104:105], v[128:129], v[104:105]
	v_mul_f64 v[110:111], v[110:111], s[28:29]
	v_fma_f64 v[102:103], s[2:3], v[92:93], v[150:151]
	v_add_f64 v[154:155], v[16:17], v[154:155]
	v_fmac_f64_e32 v[106:107], s[4:5], v[96:97]
	v_fma_f64 v[92:93], v[92:93], s[2:3], -v[150:151]
	v_add_f64 v[90:91], v[16:17], v[90:91]
	v_add_f64 v[14:15], v[14:15], v[48:49]
	v_mul_f64 v[214:215], v[122:123], s[30:31]
	v_add_f64 v[240:241], v[240:241], v[244:245]
	v_add_f64 v[180:181], v[180:181], v[220:221]
	;; [unrolled: 1-line block ×3, first 2 shown]
	v_add_f64 v[166:167], v[210:211], -v[166:167]
	v_add_f64 v[162:163], v[164:165], v[162:163]
	v_add_f64 v[104:105], v[120:121], v[104:105]
	v_mul_f64 v[120:121], v[148:149], s[18:19]
	v_mul_f64 v[132:133], v[132:133], s[14:15]
	v_fma_f64 v[148:149], s[24:25], v[100:101], v[110:111]
	v_add_f64 v[102:103], v[102:103], v[154:155]
	v_fmac_f64_e32 v[118:119], s[28:29], v[108:109]
	v_add_f64 v[94:95], v[106:107], v[94:95]
	v_fma_f64 v[100:101], v[100:101], s[24:25], -v[110:111]
	v_add_f64 v[90:91], v[92:93], v[90:91]
	v_add_f64 v[14:15], v[14:15], v[36:37]
	v_mul_f64 v[218:219], v[126:127], s[2:3]
	v_add_f64 v[236:237], v[236:237], v[240:241]
	v_add_f64 v[188:189], v[188:189], v[222:223]
	;; [unrolled: 1-line block ×3, first 2 shown]
	v_add_f64 v[170:171], v[214:215], -v[170:171]
	v_add_f64 v[162:163], v[166:167], v[162:163]
	v_mul_f64 v[138:139], v[138:139], s[38:39]
	v_fma_f64 v[146:147], s[12:13], v[122:123], v[132:133]
	v_add_f64 v[102:103], v[148:149], v[102:103]
	v_fmac_f64_e32 v[140:141], s[14:15], v[130:131]
	v_add_f64 v[94:95], v[118:119], v[94:95]
	v_fma_f64 v[108:109], v[122:123], s[12:13], -v[132:133]
	v_add_f64 v[90:91], v[100:101], v[90:91]
	v_add_f64 v[14:15], v[14:15], v[32:33]
	v_mul_f64 v[238:239], v[134:135], s[20:21]
	v_add_f64 v[232:233], v[232:233], v[236:237]
	v_add_f64 v[196:197], v[196:197], v[250:251]
	;; [unrolled: 1-line block ×3, first 2 shown]
	v_add_f64 v[178:179], v[218:219], -v[178:179]
	v_add_f64 v[162:163], v[170:171], v[162:163]
	v_add_f64 v[156:157], v[156:157], v[208:209]
	v_fma_f64 v[144:145], s[20:21], v[126:127], v[138:139]
	v_add_f64 v[102:103], v[146:147], v[102:103]
	v_fmac_f64_e32 v[124:125], s[38:39], v[136:137]
	v_add_f64 v[94:95], v[140:141], v[94:95]
	v_fma_f64 v[106:107], v[126:127], s[20:21], -v[138:139]
	v_add_f64 v[90:91], v[108:109], v[90:91]
	v_add_f64 v[12:13], v[14:15], v[12:13]
	s_movk_i32 s2, 0xc0
	v_add_f64 v[230:231], v[230:231], v[232:233]
	v_add_f64 v[204:205], v[204:205], v[234:235]
	;; [unrolled: 1-line block ×3, first 2 shown]
	v_add_f64 v[172:173], v[238:239], -v[190:191]
	v_add_f64 v[162:163], v[178:179], v[162:163]
	v_add_f64 v[160:161], v[160:161], v[242:243]
	;; [unrolled: 1-line block ×3, first 2 shown]
	v_fma_f64 v[128:129], s[16:17], v[134:135], v[120:121]
	v_add_f64 v[102:103], v[144:145], v[102:103]
	v_fmac_f64_e32 v[112:113], s[18:19], v[142:143]
	v_add_f64 v[94:95], v[124:125], v[94:95]
	v_fma_f64 v[96:97], v[134:135], s[16:17], -v[120:121]
	v_add_f64 v[90:91], v[106:107], v[90:91]
	v_add_f64 v[8:9], v[12:13], v[8:9]
	v_mad_u32_u24 v12, v84, s2, v224
	v_add_f64 v[226:227], v[226:227], v[230:231]
	v_add_f64 v[168:169], v[204:205], v[168:169]
	;; [unrolled: 1-line block ×7, first 2 shown]
	ds_write_b128 v12, v[8:11]
	ds_write_b128 v12, v[92:95] offset:16
	ds_write_b128 v12, v[114:117] offset:32
	;; [unrolled: 1-line block ×12, first 2 shown]
.LBB0_21:
	s_or_b64 exec, exec, s[22:23]
	s_movk_i32 s2, 0x4f
	v_mul_lo_u16_sdwa v8, v84, s2 dst_sel:DWORD dst_unused:UNUSED_PAD src0_sel:BYTE_0 src1_sel:DWORD
	v_add_u32_e32 v50, 0x9c, v84
	v_lshrrev_b16_e32 v17, 10, v8
	s_movk_i32 s2, 0x4ec5
	v_mul_lo_u16_e32 v10, 13, v17
	v_mul_u32_u24_sdwa v89, v50, s2 dst_sel:DWORD dst_unused:UNUSED_PAD src0_sel:WORD_0 src1_sel:DWORD
	v_sub_u16_e32 v10, v84, v10
	v_mov_b32_e32 v16, 4
	v_lshrrev_b32_e32 v94, 18, v89
	v_mul_u32_u24_sdwa v96, v88, s2 dst_sel:DWORD dst_unused:UNUSED_PAD src0_sel:WORD_0 src1_sel:DWORD
	v_lshlrev_b32_sdwa v51, v16, v10 dst_sel:DWORD dst_unused:UNUSED_PAD src0_sel:DWORD src1_sel:BYTE_0
	v_mul_lo_u16_e32 v10, 13, v94
	v_lshrrev_b32_e32 v97, 18, v96
	v_sub_u16_e32 v10, v50, v10
	v_mul_lo_u16_e32 v14, 13, v97
	v_mul_u32_u24_sdwa v99, v86, s2 dst_sel:DWORD dst_unused:UNUSED_PAD src0_sel:WORD_0 src1_sel:DWORD
	v_add_u32_e32 v9, 0x270, v84
	s_waitcnt lgkmcnt(0)
	s_barrier
	v_lshlrev_b32_e32 v95, 4, v10
	global_load_dwordx4 v[10:13], v51, s[8:9]
	global_load_dwordx4 v[18:21], v95, s[8:9]
	v_sub_u16_e32 v14, v88, v14
	v_lshrrev_b32_e32 v100, 18, v99
	v_lshlrev_b32_e32 v98, 4, v14
	v_mul_lo_u16_e32 v14, 13, v100
	v_mul_u32_u24_sdwa v102, v9, s2 dst_sel:DWORD dst_unused:UNUSED_PAD src0_sel:WORD_0 src1_sel:DWORD
	v_sub_u16_e32 v14, v86, v14
	v_lshrrev_b32_e32 v103, 18, v102
	v_lshlrev_b32_e32 v101, 4, v14
	v_mul_lo_u16_e32 v14, 13, v103
	v_sub_u16_e32 v14, v9, v14
	global_load_dwordx4 v[22:25], v98, s[8:9]
	global_load_dwordx4 v[26:29], v101, s[8:9]
	v_lshlrev_b32_e32 v104, 4, v14
	global_load_dwordx4 v[30:33], v104, s[8:9]
	ds_read_b128 v[34:37], v224
	ds_read_b128 v[38:41], v224 offset:2496
	ds_read_b128 v[42:45], v224 offset:14976
	ds_read_b128 v[46:49], v224 offset:17472
	ds_read_b128 v[52:55], v85
	ds_read_b128 v[56:59], v87
	ds_read_b128 v[60:63], v224 offset:12480
	ds_read_b128 v[64:67], v224 offset:9984
	;; [unrolled: 1-line block ×4, first 2 shown]
	s_waitcnt lgkmcnt(0)
	s_barrier
	s_mov_b32 s2, 0x5040100
	s_movk_i32 s3, 0x1a0
	v_lshrrev_b32_e32 v96, 19, v96
	v_lshrrev_b32_e32 v99, 19, v99
	;; [unrolled: 1-line block ×3, first 2 shown]
	s_mov_b32 s14, 0x134454ff
	s_mov_b32 s15, 0x3fee6f0e
	;; [unrolled: 1-line block ×10, first 2 shown]
	v_cmp_gt_u32_e32 vcc, 52, v84
	s_waitcnt vmcnt(4)
	v_mul_f64 v[14:15], v[62:63], v[12:13]
	v_mul_f64 v[12:13], v[60:61], v[12:13]
	v_fma_f64 v[14:15], v[60:61], v[10:11], -v[14:15]
	v_fmac_f64_e32 v[12:13], v[62:63], v[10:11]
	s_waitcnt vmcnt(3)
	v_mul_f64 v[76:77], v[44:45], v[20:21]
	v_mul_f64 v[20:21], v[42:43], v[20:21]
	v_add_f64 v[10:11], v[34:35], -v[14:15]
	v_add_f64 v[12:13], v[36:37], -v[12:13]
	v_mul_u32_u24_e32 v14, 0x1a0, v17
	v_fma_f64 v[42:43], v[42:43], v[18:19], -v[76:77]
	v_fmac_f64_e32 v[20:21], v[44:45], v[18:19]
	v_fma_f64 v[34:35], v[34:35], 2.0, -v[10:11]
	v_fma_f64 v[36:37], v[36:37], 2.0, -v[12:13]
	v_add3_u32 v14, 0, v14, v51
	v_add_f64 v[18:19], v[38:39], -v[42:43]
	v_add_f64 v[20:21], v[40:41], -v[20:21]
	ds_write_b128 v14, v[34:37]
	ds_write_b128 v14, v[10:13] offset:208
	v_mul_u32_u24_e32 v10, 0x1a0, v94
	v_fma_f64 v[38:39], v[38:39], 2.0, -v[18:19]
	v_fma_f64 v[40:41], v[40:41], 2.0, -v[20:21]
	v_add3_u32 v10, 0, v10, v95
	s_waitcnt vmcnt(2)
	v_mul_f64 v[78:79], v[48:49], v[24:25]
	v_mul_f64 v[24:25], v[46:47], v[24:25]
	s_waitcnt vmcnt(1)
	v_mul_f64 v[90:91], v[70:71], v[28:29]
	v_mul_f64 v[28:29], v[68:69], v[28:29]
	ds_write_b128 v10, v[38:41]
	ds_write_b128 v10, v[18:21] offset:208
	v_perm_b32 v10, v100, v97, s2
	s_waitcnt vmcnt(0)
	v_mul_f64 v[92:93], v[74:75], v[32:33]
	v_fma_f64 v[44:45], v[46:47], v[22:23], -v[78:79]
	v_fmac_f64_e32 v[24:25], v[48:49], v[22:23]
	v_fma_f64 v[46:47], v[68:69], v[26:27], -v[90:91]
	v_fmac_f64_e32 v[28:29], v[70:71], v[26:27]
	v_pk_mul_lo_u16 v10, v10, s3 op_sel_hi:[1,0]
	v_mul_f64 v[32:33], v[72:73], v[32:33]
	v_fma_f64 v[48:49], v[72:73], v[30:31], -v[92:93]
	v_add_f64 v[22:23], v[52:53], -v[44:45]
	v_add_f64 v[24:25], v[54:55], -v[24:25]
	;; [unrolled: 1-line block ×4, first 2 shown]
	v_and_b32_e32 v11, 0xffe0, v10
	v_lshrrev_b32_e32 v10, 16, v10
	v_fmac_f64_e32 v[32:33], v[74:75], v[30:31]
	v_add_f64 v[30:31], v[64:65], -v[48:49]
	v_fma_f64 v[42:43], v[52:53], 2.0, -v[22:23]
	v_fma_f64 v[44:45], v[54:55], 2.0, -v[24:25]
	;; [unrolled: 1-line block ×4, first 2 shown]
	v_add3_u32 v11, 0, v11, v98
	v_add3_u32 v10, 0, v10, v101
	v_add_f64 v[32:33], v[66:67], -v[32:33]
	ds_write_b128 v11, v[42:45]
	ds_write_b128 v11, v[22:25] offset:208
	ds_write_b128 v10, v[46:49]
	ds_write_b128 v10, v[26:29] offset:208
	v_mul_u32_u24_e32 v10, 0x1a0, v103
	v_fma_f64 v[52:53], v[64:65], 2.0, -v[30:31]
	v_fma_f64 v[54:55], v[66:67], 2.0, -v[32:33]
	v_add3_u32 v10, 0, v10, v104
	v_lshrrev_b16_e32 v17, 11, v8
	v_mul_lo_u16_e32 v14, 26, v96
	ds_write_b128 v10, v[52:55]
	ds_write_b128 v10, v[30:33] offset:208
	v_mul_lo_u16_e32 v10, 26, v17
	v_sub_u16_e32 v14, v88, v14
	v_sub_u16_e32 v10, v84, v10
	v_lshlrev_b32_e32 v98, 4, v14
	v_mul_lo_u16_e32 v14, 26, v99
	v_lshlrev_b32_sdwa v51, v16, v10 dst_sel:DWORD dst_unused:UNUSED_PAD src0_sel:DWORD src1_sel:BYTE_0
	v_mul_lo_u16_e32 v10, 26, v89
	v_sub_u16_e32 v14, v86, v14
	v_lshrrev_b32_e32 v101, 19, v102
	v_sub_u16_e32 v10, v50, v10
	v_lshlrev_b32_e32 v100, 4, v14
	v_mul_lo_u16_e32 v14, 26, v101
	s_waitcnt lgkmcnt(0)
	s_barrier
	v_lshlrev_b32_e32 v97, 4, v10
	global_load_dwordx4 v[10:13], v51, s[8:9] offset:208
	global_load_dwordx4 v[18:21], v97, s[8:9] offset:208
	v_sub_u16_e32 v9, v9, v14
	v_lshlrev_b32_e32 v9, 4, v9
	global_load_dwordx4 v[22:25], v98, s[8:9] offset:208
	global_load_dwordx4 v[26:29], v100, s[8:9] offset:208
	;; [unrolled: 1-line block ×3, first 2 shown]
	ds_read_b128 v[34:37], v224 offset:12480
	ds_read_b128 v[38:41], v224
	ds_read_b128 v[42:45], v224 offset:2496
	ds_read_b128 v[46:49], v224 offset:14976
	;; [unrolled: 1-line block ×3, first 2 shown]
	ds_read_b128 v[56:59], v85
	ds_read_b128 v[60:63], v87
	ds_read_b128 v[64:67], v224 offset:9984
	ds_read_b128 v[68:71], v224 offset:19968
	;; [unrolled: 1-line block ×3, first 2 shown]
	s_waitcnt lgkmcnt(0)
	s_barrier
	s_movk_i32 s3, 0x340
	s_waitcnt vmcnt(4)
	v_mul_f64 v[14:15], v[36:37], v[12:13]
	v_mul_f64 v[12:13], v[34:35], v[12:13]
	v_fma_f64 v[14:15], v[34:35], v[10:11], -v[14:15]
	v_fmac_f64_e32 v[12:13], v[36:37], v[10:11]
	s_waitcnt vmcnt(3)
	v_mul_f64 v[76:77], v[48:49], v[20:21]
	v_mul_f64 v[78:79], v[46:47], v[20:21]
	s_waitcnt vmcnt(2)
	v_mul_f64 v[20:21], v[54:55], v[24:25]
	v_add_f64 v[10:11], v[38:39], -v[14:15]
	v_add_f64 v[12:13], v[40:41], -v[12:13]
	v_mul_u32_u24_e32 v14, 0x340, v17
	v_mul_f64 v[90:91], v[52:53], v[24:25]
	s_waitcnt vmcnt(1)
	v_mul_f64 v[24:25], v[70:71], v[28:29]
	v_mul_f64 v[92:93], v[68:69], v[28:29]
	s_waitcnt vmcnt(0)
	v_mul_f64 v[28:29], v[74:75], v[32:33]
	v_mul_f64 v[94:95], v[72:73], v[32:33]
	v_fma_f64 v[32:33], v[46:47], v[18:19], -v[76:77]
	v_fmac_f64_e32 v[78:79], v[48:49], v[18:19]
	v_fma_f64 v[34:35], v[52:53], v[22:23], -v[20:21]
	v_fma_f64 v[18:19], v[38:39], 2.0, -v[10:11]
	v_fma_f64 v[20:21], v[40:41], 2.0, -v[12:13]
	v_add3_u32 v14, 0, v14, v51
	ds_write_b128 v14, v[18:21]
	ds_write_b128 v14, v[10:13] offset:416
	v_perm_b32 v10, v96, v89, s2
	v_fmac_f64_e32 v[90:91], v[54:55], v[22:23]
	v_pk_mul_lo_u16 v10, v10, s3 op_sel_hi:[1,0]
	v_fma_f64 v[46:47], v[68:69], v[26:27], -v[24:25]
	v_fma_f64 v[48:49], v[72:73], v[30:31], -v[28:29]
	v_fmac_f64_e32 v[94:95], v[74:75], v[30:31]
	v_add_f64 v[22:23], v[42:43], -v[32:33]
	v_add_f64 v[24:25], v[44:45], -v[78:79]
	v_add_f64 v[30:31], v[56:57], -v[34:35]
	v_add_f64 v[32:33], v[58:59], -v[90:91]
	v_and_b32_e32 v11, 0xffc0, v10
	v_lshrrev_b32_e32 v10, 16, v10
	v_fmac_f64_e32 v[92:93], v[70:71], v[26:27]
	v_fma_f64 v[26:27], v[42:43], 2.0, -v[22:23]
	v_fma_f64 v[28:29], v[44:45], 2.0, -v[24:25]
	;; [unrolled: 1-line block ×4, first 2 shown]
	v_add3_u32 v11, 0, v11, v97
	v_add3_u32 v10, 0, v10, v98
	v_lshrrev_b16_e32 v17, 12, v8
	v_add_f64 v[38:39], v[60:61], -v[46:47]
	v_add_f64 v[40:41], v[62:63], -v[92:93]
	ds_write_b128 v11, v[26:29]
	ds_write_b128 v11, v[22:25] offset:416
	ds_write_b128 v10, v[34:37]
	ds_write_b128 v10, v[30:33] offset:416
	v_mul_u32_u24_e32 v10, 0x340, v99
	v_mul_lo_u16_e32 v8, 52, v17
	v_fma_f64 v[42:43], v[60:61], 2.0, -v[38:39]
	v_fma_f64 v[44:45], v[62:63], 2.0, -v[40:41]
	v_add3_u32 v10, 0, v10, v100
	v_sub_u16_e32 v51, v84, v8
	v_mov_b32_e32 v8, 9
	v_add_f64 v[46:47], v[64:65], -v[48:49]
	v_add_f64 v[48:49], v[66:67], -v[94:95]
	ds_write_b128 v10, v[42:45]
	ds_write_b128 v10, v[38:41] offset:416
	v_mul_u32_u24_e32 v10, 0x340, v101
	v_mul_u32_u24_sdwa v8, v51, v8 dst_sel:DWORD dst_unused:UNUSED_PAD src0_sel:BYTE_0 src1_sel:DWORD
	v_fma_f64 v[52:53], v[64:65], 2.0, -v[46:47]
	v_fma_f64 v[54:55], v[66:67], 2.0, -v[48:49]
	v_add3_u32 v9, 0, v10, v9
	v_lshlrev_b32_e32 v8, 4, v8
	ds_write_b128 v9, v[52:55]
	ds_write_b128 v9, v[46:49] offset:416
	s_waitcnt lgkmcnt(0)
	s_barrier
	global_load_dwordx4 v[18:21], v8, s[8:9] offset:624
	global_load_dwordx4 v[22:25], v8, s[8:9] offset:640
	;; [unrolled: 1-line block ×9, first 2 shown]
	ds_read_b128 v[8:11], v224
	ds_read_b128 v[56:59], v224 offset:2496
	ds_read_b128 v[60:63], v85
	ds_read_b128 v[64:67], v87
	ds_read_b128 v[68:71], v224 offset:9984
	ds_read_b128 v[72:75], v224 offset:12480
	;; [unrolled: 1-line block ×6, first 2 shown]
	s_mov_b32 s2, 0x372fe950
	s_mov_b32 s3, 0x3fd3c6ef
	v_mul_u32_u24_e32 v17, 0x2080, v17
	v_lshlrev_b32_sdwa v16, v16, v51 dst_sel:DWORD dst_unused:UNUSED_PAD src0_sel:DWORD src1_sel:BYTE_0
	v_add3_u32 v16, 0, v17, v16
	s_waitcnt lgkmcnt(0)
	s_barrier
	s_waitcnt vmcnt(8)
	v_mul_f64 v[14:15], v[58:59], v[20:21]
	v_mul_f64 v[12:13], v[56:57], v[20:21]
	s_waitcnt vmcnt(7)
	v_mul_f64 v[20:21], v[62:63], v[24:25]
	v_mul_f64 v[24:25], v[60:61], v[24:25]
	s_waitcnt vmcnt(6)
	v_mul_f64 v[102:103], v[66:67], v[28:29]
	v_fma_f64 v[14:15], v[56:57], v[18:19], -v[14:15]
	v_fmac_f64_e32 v[12:13], v[58:59], v[18:19]
	v_fma_f64 v[18:19], v[60:61], v[22:23], -v[20:21]
	v_fmac_f64_e32 v[24:25], v[62:63], v[22:23]
	v_mul_f64 v[22:23], v[64:65], v[28:29]
	v_fma_f64 v[20:21], v[64:65], v[26:27], -v[102:103]
	v_fmac_f64_e32 v[22:23], v[66:67], v[26:27]
	s_waitcnt vmcnt(5)
	v_mul_f64 v[26:27], v[70:71], v[32:33]
	v_mul_f64 v[28:29], v[68:69], v[32:33]
	v_fma_f64 v[26:27], v[68:69], v[30:31], -v[26:27]
	v_fmac_f64_e32 v[28:29], v[70:71], v[30:31]
	s_waitcnt vmcnt(4)
	v_mul_f64 v[30:31], v[74:75], v[36:37]
	;; [unrolled: 5-line block ×6, first 2 shown]
	v_mul_f64 v[48:49], v[98:99], v[54:55]
	v_add_f64 v[54:55], v[26:27], v[34:35]
	v_fma_f64 v[54:55], -0.5, v[54:55], v[8:9]
	v_add_f64 v[56:57], v[24:25], -v[44:45]
	v_fma_f64 v[58:59], s[14:15], v[56:57], v[54:55]
	v_add_f64 v[60:61], v[28:29], -v[36:37]
	v_add_f64 v[62:63], v[18:19], -v[26:27]
	;; [unrolled: 1-line block ×3, first 2 shown]
	v_fmac_f64_e32 v[54:55], s[4:5], v[56:57]
	v_fmac_f64_e32 v[58:59], s[16:17], v[60:61]
	v_add_f64 v[62:63], v[62:63], v[64:65]
	v_fmac_f64_e32 v[54:55], s[12:13], v[60:61]
	v_fmac_f64_e32 v[58:59], s[2:3], v[62:63]
	;; [unrolled: 1-line block ×3, first 2 shown]
	v_add_f64 v[62:63], v[18:19], v[42:43]
	v_fma_f64 v[46:47], v[98:99], v[52:53], -v[46:47]
	v_fmac_f64_e32 v[48:49], v[100:101], v[52:53]
	v_add_f64 v[52:53], v[8:9], v[18:19]
	v_fmac_f64_e32 v[8:9], -0.5, v[62:63]
	v_add_f64 v[52:53], v[52:53], v[26:27]
	v_fma_f64 v[62:63], s[4:5], v[60:61], v[8:9]
	v_add_f64 v[64:65], v[26:27], -v[18:19]
	v_add_f64 v[66:67], v[34:35], -v[42:43]
	v_fmac_f64_e32 v[8:9], s[14:15], v[60:61]
	v_add_f64 v[60:61], v[28:29], v[36:37]
	v_add_f64 v[52:53], v[52:53], v[34:35]
	v_fmac_f64_e32 v[62:63], s[16:17], v[56:57]
	v_add_f64 v[64:65], v[64:65], v[66:67]
	v_fmac_f64_e32 v[8:9], s[12:13], v[56:57]
	v_fma_f64 v[60:61], -0.5, v[60:61], v[10:11]
	v_add_f64 v[18:19], v[18:19], -v[42:43]
	v_add_f64 v[52:53], v[52:53], v[42:43]
	v_fmac_f64_e32 v[62:63], s[2:3], v[64:65]
	v_fmac_f64_e32 v[8:9], s[2:3], v[64:65]
	v_fma_f64 v[64:65], s[4:5], v[18:19], v[60:61]
	v_add_f64 v[26:27], v[26:27], -v[34:35]
	v_add_f64 v[34:35], v[24:25], -v[28:29]
	;; [unrolled: 1-line block ×3, first 2 shown]
	v_fmac_f64_e32 v[60:61], s[14:15], v[18:19]
	v_fmac_f64_e32 v[64:65], s[12:13], v[26:27]
	v_add_f64 v[34:35], v[34:35], v[42:43]
	v_fmac_f64_e32 v[60:61], s[16:17], v[26:27]
	v_fmac_f64_e32 v[64:65], s[2:3], v[34:35]
	v_fmac_f64_e32 v[60:61], s[2:3], v[34:35]
	v_add_f64 v[34:35], v[24:25], v[44:45]
	v_add_f64 v[56:57], v[10:11], v[24:25]
	v_fmac_f64_e32 v[10:11], -0.5, v[34:35]
	v_fma_f64 v[66:67], s[14:15], v[26:27], v[10:11]
	v_fmac_f64_e32 v[10:11], s[4:5], v[26:27]
	v_fmac_f64_e32 v[66:67], s[12:13], v[18:19]
	;; [unrolled: 1-line block ×3, first 2 shown]
	v_add_f64 v[18:19], v[14:15], v[20:21]
	v_add_f64 v[18:19], v[18:19], v[30:31]
	;; [unrolled: 1-line block ×4, first 2 shown]
	v_add_f64 v[24:25], v[28:29], -v[24:25]
	v_add_f64 v[28:29], v[36:37], -v[44:45]
	v_add_f64 v[42:43], v[18:19], v[46:47]
	v_add_f64 v[18:19], v[30:31], v[38:39]
	;; [unrolled: 1-line block ×4, first 2 shown]
	v_fma_f64 v[36:37], -0.5, v[18:19], v[14:15]
	v_add_f64 v[18:19], v[22:23], -v[48:49]
	v_fmac_f64_e32 v[66:67], s[2:3], v[24:25]
	v_fmac_f64_e32 v[10:11], s[2:3], v[24:25]
	v_fma_f64 v[24:25], s[14:15], v[18:19], v[36:37]
	v_add_f64 v[26:27], v[32:33], -v[40:41]
	v_add_f64 v[28:29], v[20:21], -v[30:31]
	;; [unrolled: 1-line block ×3, first 2 shown]
	v_fmac_f64_e32 v[36:37], s[4:5], v[18:19]
	v_fmac_f64_e32 v[24:25], s[16:17], v[26:27]
	v_add_f64 v[28:29], v[28:29], v[34:35]
	v_fmac_f64_e32 v[36:37], s[12:13], v[26:27]
	v_fmac_f64_e32 v[24:25], s[2:3], v[28:29]
	;; [unrolled: 1-line block ×3, first 2 shown]
	v_add_f64 v[28:29], v[20:21], v[46:47]
	v_fmac_f64_e32 v[14:15], -0.5, v[28:29]
	v_fma_f64 v[28:29], s[4:5], v[26:27], v[14:15]
	v_fmac_f64_e32 v[14:15], s[14:15], v[26:27]
	v_fmac_f64_e32 v[28:29], s[16:17], v[18:19]
	;; [unrolled: 1-line block ×3, first 2 shown]
	v_add_f64 v[18:19], v[12:13], v[22:23]
	v_add_f64 v[18:19], v[18:19], v[32:33]
	;; [unrolled: 1-line block ×3, first 2 shown]
	v_add_f64 v[34:35], v[30:31], -v[20:21]
	v_add_f64 v[44:45], v[38:39], -v[46:47]
	v_add_f64 v[18:19], v[18:19], v[40:41]
	v_add_f64 v[34:35], v[34:35], v[44:45]
	;; [unrolled: 1-line block ×4, first 2 shown]
	v_fma_f64 v[68:69], -0.5, v[18:19], v[12:13]
	v_add_f64 v[18:19], v[20:21], -v[46:47]
	v_fma_f64 v[46:47], s[4:5], v[18:19], v[68:69]
	v_add_f64 v[20:21], v[30:31], -v[38:39]
	v_add_f64 v[26:27], v[22:23], -v[32:33]
	;; [unrolled: 1-line block ×3, first 2 shown]
	v_fmac_f64_e32 v[68:69], s[14:15], v[18:19]
	v_fmac_f64_e32 v[46:47], s[12:13], v[20:21]
	v_add_f64 v[26:27], v[26:27], v[30:31]
	v_fmac_f64_e32 v[68:69], s[16:17], v[20:21]
	v_fmac_f64_e32 v[46:47], s[2:3], v[26:27]
	;; [unrolled: 1-line block ×3, first 2 shown]
	v_add_f64 v[26:27], v[22:23], v[48:49]
	v_fmac_f64_e32 v[12:13], -0.5, v[26:27]
	v_fma_f64 v[38:39], s[14:15], v[20:21], v[12:13]
	v_add_f64 v[22:23], v[32:33], -v[22:23]
	v_add_f64 v[26:27], v[40:41], -v[48:49]
	v_fmac_f64_e32 v[12:13], s[4:5], v[20:21]
	v_fmac_f64_e32 v[14:15], s[2:3], v[34:35]
	v_add_f64 v[22:23], v[22:23], v[26:27]
	v_fmac_f64_e32 v[12:13], s[16:17], v[18:19]
	v_fmac_f64_e32 v[38:39], s[12:13], v[18:19]
	;; [unrolled: 1-line block ×3, first 2 shown]
	v_mul_f64 v[20:21], v[14:15], s[2:3]
	v_fmac_f64_e32 v[28:29], s[2:3], v[34:35]
	v_fmac_f64_e32 v[38:39], s[2:3], v[22:23]
	v_fma_f64 v[70:71], v[12:13], s[14:15], -v[20:21]
	v_mul_f64 v[12:13], v[12:13], s[2:3]
	v_mul_f64 v[40:41], v[46:47], s[16:17]
	;; [unrolled: 1-line block ×6, first 2 shown]
	v_fma_f64 v[78:79], v[14:15], s[4:5], -v[12:13]
	v_mul_f64 v[12:13], v[68:69], s[18:19]
	v_fmac_f64_e32 v[40:41], s[18:19], v[24:25]
	v_fmac_f64_e32 v[48:49], s[2:3], v[28:29]
	v_fma_f64 v[72:73], v[68:69], s[16:17], -v[20:21]
	v_fmac_f64_e32 v[74:75], s[18:19], v[46:47]
	v_fmac_f64_e32 v[76:77], s[2:3], v[38:39]
	v_fma_f64 v[68:69], v[36:37], s[12:13], -v[12:13]
	v_add_f64 v[18:19], v[52:53], v[42:43]
	v_add_f64 v[22:23], v[58:59], v[40:41]
	;; [unrolled: 1-line block ×10, first 2 shown]
	v_add_f64 v[12:13], v[52:53], -v[42:43]
	v_add_f64 v[38:39], v[58:59], -v[40:41]
	;; [unrolled: 1-line block ×10, first 2 shown]
	ds_write_b128 v16, v[18:21]
	ds_write_b128 v16, v[22:25] offset:832
	ds_write_b128 v16, v[26:29] offset:1664
	;; [unrolled: 1-line block ×9, first 2 shown]
	s_waitcnt lgkmcnt(0)
	s_barrier
	ds_read_b128 v[20:23], v224
	ds_read_b128 v[16:19], v224 offset:2496
	ds_read_b128 v[40:43], v224 offset:8320
	;; [unrolled: 1-line block ×3, first 2 shown]
	ds_read_b128 v[12:15], v85
	ds_read_b128 v[44:47], v224 offset:16640
	ds_read_b128 v[24:27], v224 offset:13312
	;; [unrolled: 1-line block ×4, first 2 shown]
	s_and_saveexec_b64 s[2:3], vcc
	s_cbranch_execz .LBB0_23
; %bb.22:
	ds_read_b128 v[8:11], v87
	ds_read_b128 v[4:7], v224 offset:15808
	ds_read_b128 v[0:3], v224 offset:24128
.LBB0_23:
	s_or_b64 exec, exec, s[2:3]
	v_lshlrev_b32_e32 v48, 1, v84
	v_mov_b32_e32 v49, 0
	v_lshl_add_u64 v[52:53], v[48:49], 4, s[8:9]
	s_movk_i32 s12, 0x1000
	v_add_co_u32_e64 v62, s[2:3], s12, v52
	v_lshlrev_b32_e32 v48, 1, v50
	s_mov_b64 s[4:5], 0x1fb0
	v_addc_co_u32_e64 v63, s[2:3], 0, v53, s[2:3]
	v_lshl_add_u64 v[50:51], v[48:49], 4, s[8:9]
	v_lshl_add_u64 v[68:69], v[50:51], 0, s[4:5]
	v_add_co_u32_e64 v50, s[2:3], s12, v50
	v_lshl_add_u64 v[60:61], v[52:53], 0, s[4:5]
	s_nop 0
	v_addc_co_u32_e64 v51, s[2:3], 0, v51, s[2:3]
	v_lshlrev_b32_e32 v48, 1, v88
	global_load_dwordx4 v[52:55], v[62:63], off offset:4016
	global_load_dwordx4 v[56:59], v[60:61], off offset:16
	s_nop 0
	global_load_dwordx4 v[60:63], v[50:51], off offset:4016
	global_load_dwordx4 v[64:67], v[68:69], off offset:16
	v_lshl_add_u64 v[50:51], v[48:49], 4, s[8:9]
	v_add_co_u32_e64 v68, s[2:3], s12, v50
	s_mov_b32 s13, 0xbfebb67a
	s_nop 0
	v_addc_co_u32_e64 v69, s[2:3], 0, v51, s[2:3]
	v_lshl_add_u64 v[50:51], v[50:51], 0, s[4:5]
	global_load_dwordx4 v[68:71], v[68:69], off offset:4016
	s_mov_b32 s2, 0xe8584caa
	global_load_dwordx4 v[72:75], v[50:51], off offset:16
	s_mov_b32 s3, 0x3febb67a
	s_mov_b32 s12, s2
	s_waitcnt lgkmcnt(0)
	s_barrier
	s_waitcnt vmcnt(5)
	v_mul_f64 v[50:51], v[42:43], v[54:55]
	v_mul_f64 v[54:55], v[40:41], v[54:55]
	s_waitcnt vmcnt(4)
	v_mul_f64 v[76:77], v[46:47], v[58:59]
	v_mul_f64 v[58:59], v[44:45], v[58:59]
	v_fma_f64 v[40:41], v[40:41], v[52:53], -v[50:51]
	v_fmac_f64_e32 v[54:55], v[42:43], v[52:53]
	v_fma_f64 v[42:43], v[44:45], v[56:57], -v[76:77]
	v_fmac_f64_e32 v[58:59], v[46:47], v[56:57]
	s_waitcnt vmcnt(3)
	v_mul_f64 v[44:45], v[34:35], v[62:63]
	v_mul_f64 v[46:47], v[32:33], v[62:63]
	s_waitcnt vmcnt(2)
	v_mul_f64 v[50:51], v[38:39], v[66:67]
	v_mul_f64 v[52:53], v[36:37], v[66:67]
	v_fma_f64 v[32:33], v[32:33], v[60:61], -v[44:45]
	v_fmac_f64_e32 v[46:47], v[34:35], v[60:61]
	v_fma_f64 v[34:35], v[36:37], v[64:65], -v[50:51]
	v_fmac_f64_e32 v[52:53], v[38:39], v[64:65]
	s_waitcnt vmcnt(1)
	v_mul_f64 v[36:37], v[26:27], v[70:71]
	v_mul_f64 v[50:51], v[24:25], v[70:71]
	s_waitcnt vmcnt(0)
	v_mul_f64 v[38:39], v[30:31], v[74:75]
	v_add_f64 v[44:45], v[20:21], v[40:41]
	v_fma_f64 v[66:67], v[24:25], v[68:69], -v[36:37]
	v_fmac_f64_e32 v[50:51], v[26:27], v[68:69]
	v_fma_f64 v[68:69], v[28:29], v[72:73], -v[38:39]
	v_add_f64 v[38:39], v[32:33], v[34:35]
	v_mul_f64 v[56:57], v[28:29], v[74:75]
	v_add_f64 v[60:61], v[40:41], v[42:43]
	v_add_f64 v[62:63], v[54:55], -v[58:59]
	v_add_f64 v[64:65], v[22:23], v[54:55]
	v_add_f64 v[54:55], v[54:55], v[58:59]
	v_add_f64 v[40:41], v[40:41], -v[42:43]
	v_add_f64 v[24:25], v[44:45], v[42:43]
	v_add_f64 v[36:37], v[16:17], v[32:33]
	v_add_f64 v[42:43], v[46:47], -v[52:53]
	v_fmac_f64_e32 v[16:17], -0.5, v[38:39]
	v_fmac_f64_e32 v[56:57], v[30:31], v[72:73]
	v_fmac_f64_e32 v[22:23], -0.5, v[54:55]
	v_add_f64 v[44:45], v[18:19], v[46:47]
	v_add_f64 v[46:47], v[46:47], v[52:53]
	v_add_f64 v[54:55], v[32:33], -v[34:35]
	v_add_f64 v[32:33], v[36:37], v[34:35]
	v_fma_f64 v[36:37], s[2:3], v[42:43], v[16:17]
	v_fmac_f64_e32 v[16:17], s[12:13], v[42:43]
	v_add_f64 v[42:43], v[66:67], v[68:69]
	v_fma_f64 v[30:31], s[12:13], v[40:41], v[22:23]
	v_fmac_f64_e32 v[22:23], s[2:3], v[40:41]
	v_fmac_f64_e32 v[18:19], -0.5, v[46:47]
	v_add_f64 v[40:41], v[12:13], v[66:67]
	v_fmac_f64_e32 v[12:13], -0.5, v[42:43]
	v_add_f64 v[42:43], v[50:51], -v[56:57]
	v_add_f64 v[46:47], v[50:51], v[56:57]
	v_fmac_f64_e32 v[20:21], -0.5, v[60:61]
	v_add_f64 v[26:27], v[64:65], v[58:59]
	v_add_f64 v[34:35], v[44:45], v[52:53]
	v_fma_f64 v[44:45], s[2:3], v[42:43], v[12:13]
	v_fmac_f64_e32 v[12:13], s[12:13], v[42:43]
	v_add_f64 v[42:43], v[14:15], v[50:51]
	v_fmac_f64_e32 v[14:15], -0.5, v[46:47]
	v_add_f64 v[50:51], v[66:67], -v[68:69]
	v_fma_f64 v[28:29], s[2:3], v[62:63], v[20:21]
	v_fmac_f64_e32 v[20:21], s[12:13], v[62:63]
	v_fma_f64 v[38:39], s[12:13], v[54:55], v[18:19]
	v_fmac_f64_e32 v[18:19], s[2:3], v[54:55]
	v_add_f64 v[40:41], v[40:41], v[68:69]
	v_add_f64 v[42:43], v[42:43], v[56:57]
	v_fma_f64 v[46:47], s[12:13], v[50:51], v[14:15]
	v_fmac_f64_e32 v[14:15], s[2:3], v[50:51]
	ds_write_b128 v224, v[24:27]
	ds_write_b128 v224, v[28:31] offset:8320
	ds_write_b128 v224, v[20:23] offset:16640
	;; [unrolled: 1-line block ×5, first 2 shown]
	ds_write_b128 v85, v[40:43]
	ds_write_b128 v85, v[44:47] offset:8320
	ds_write_b128 v85, v[12:15] offset:16640
	s_and_saveexec_b64 s[14:15], vcc
	s_cbranch_execz .LBB0_25
; %bb.24:
	v_subrev_u32_e32 v12, 52, v84
	v_cndmask_b32_e32 v12, v12, v86, vcc
	v_lshlrev_b32_e32 v48, 1, v12
	v_lshl_add_u64 v[12:13], v[48:49], 4, s[8:9]
	v_add_co_u32_e32 v22, vcc, 0x1000, v12
	v_lshl_add_u64 v[20:21], v[12:13], 0, s[4:5]
	s_nop 0
	v_addc_co_u32_e32 v23, vcc, 0, v13, vcc
	global_load_dwordx4 v[12:15], v[22:23], off offset:4016
	global_load_dwordx4 v[16:19], v[20:21], off offset:16
	s_waitcnt vmcnt(1)
	v_mul_f64 v[20:21], v[6:7], v[14:15]
	s_waitcnt vmcnt(0)
	v_mul_f64 v[22:23], v[2:3], v[18:19]
	v_mul_f64 v[14:15], v[4:5], v[14:15]
	;; [unrolled: 1-line block ×3, first 2 shown]
	v_fma_f64 v[4:5], v[4:5], v[12:13], -v[20:21]
	v_fma_f64 v[20:21], v[0:1], v[16:17], -v[22:23]
	v_fmac_f64_e32 v[14:15], v[6:7], v[12:13]
	v_fmac_f64_e32 v[18:19], v[2:3], v[16:17]
	v_add_f64 v[12:13], v[4:5], -v[20:21]
	v_add_f64 v[0:1], v[14:15], v[18:19]
	v_add_f64 v[6:7], v[10:11], v[14:15]
	;; [unrolled: 1-line block ×4, first 2 shown]
	v_add_f64 v[14:15], v[14:15], -v[18:19]
	v_fma_f64 v[2:3], -0.5, v[0:1], v[10:11]
	v_add_f64 v[6:7], v[6:7], v[18:19]
	v_fma_f64 v[0:1], -0.5, v[16:17], v[8:9]
	v_add_f64 v[4:5], v[4:5], v[20:21]
	v_fma_f64 v[10:11], s[2:3], v[12:13], v[2:3]
	v_fmac_f64_e32 v[2:3], s[12:13], v[12:13]
	v_fma_f64 v[8:9], s[12:13], v[14:15], v[0:1]
	v_fmac_f64_e32 v[0:1], s[2:3], v[14:15]
	ds_write_b128 v224, v[4:7] offset:7488
	ds_write_b128 v224, v[0:3] offset:15808
	;; [unrolled: 1-line block ×3, first 2 shown]
.LBB0_25:
	s_or_b64 exec, exec, s[14:15]
	s_waitcnt lgkmcnt(0)
	s_barrier
	s_and_saveexec_b64 s[2:3], s[0:1]
	s_cbranch_execz .LBB0_27
; %bb.26:
	v_mul_lo_u32 v0, s11, v82
	v_mul_lo_u32 v1, s10, v83
	v_mad_u64_u32 v[4:5], s[0:1], s10, v82, 0
	v_lshl_add_u32 v12, v84, 4, 0
	v_add3_u32 v5, v5, v1, v0
	ds_read_b128 v[0:3], v12
	v_lshl_add_u64 v[4:5], v[4:5], 4, s[6:7]
	v_lshl_add_u64 v[8:9], v[80:81], 4, v[4:5]
	ds_read_b128 v[4:7], v12 offset:2496
	v_mov_b32_e32 v85, 0
	v_lshl_add_u64 v[10:11], v[84:85], 4, v[8:9]
	s_waitcnt lgkmcnt(1)
	global_store_dwordx4 v[10:11], v[0:3], off
	s_nop 1
	v_add_u32_e32 v0, 0x9c, v84
	v_mov_b32_e32 v1, v85
	v_lshl_add_u64 v[0:1], v[0:1], 4, v[8:9]
	s_waitcnt lgkmcnt(0)
	global_store_dwordx4 v[0:1], v[4:7], off
	ds_read_b128 v[0:3], v12 offset:4992
	s_nop 0
	v_add_u32_e32 v4, 0x138, v84
	v_mov_b32_e32 v5, v85
	v_lshl_add_u64 v[10:11], v[4:5], 4, v[8:9]
	ds_read_b128 v[4:7], v12 offset:7488
	s_waitcnt lgkmcnt(1)
	global_store_dwordx4 v[10:11], v[0:3], off
	s_nop 1
	v_add_u32_e32 v0, 0x1d4, v84
	v_mov_b32_e32 v1, v85
	v_lshl_add_u64 v[0:1], v[0:1], 4, v[8:9]
	s_waitcnt lgkmcnt(0)
	global_store_dwordx4 v[0:1], v[4:7], off
	ds_read_b128 v[0:3], v12 offset:9984
	s_nop 0
	v_add_u32_e32 v4, 0x270, v84
	v_mov_b32_e32 v5, v85
	v_lshl_add_u64 v[10:11], v[4:5], 4, v[8:9]
	ds_read_b128 v[4:7], v12 offset:12480
	;; [unrolled: 14-line block ×3, first 2 shown]
	s_waitcnt lgkmcnt(1)
	global_store_dwordx4 v[10:11], v[0:3], off
	v_add_u32_e32 v10, 0x4e0, v84
	v_mov_b32_e32 v11, v85
	v_add_u32_e32 v0, 0x444, v84
	v_mov_b32_e32 v1, v85
	v_lshl_add_u64 v[0:1], v[0:1], 4, v[8:9]
	s_waitcnt lgkmcnt(0)
	global_store_dwordx4 v[0:1], v[4:7], off
	ds_read_b128 v[0:3], v12 offset:19968
	ds_read_b128 v[4:7], v12 offset:22464
	v_lshl_add_u64 v[10:11], v[10:11], 4, v[8:9]
	v_add_u32_e32 v84, 0x57c, v84
	s_waitcnt lgkmcnt(1)
	global_store_dwordx4 v[10:11], v[0:3], off
	s_nop 1
	v_lshl_add_u64 v[0:1], v[84:85], 4, v[8:9]
	s_waitcnt lgkmcnt(0)
	global_store_dwordx4 v[0:1], v[4:7], off
.LBB0_27:
	s_endpgm
	.section	.rodata,"a",@progbits
	.p2align	6, 0x0
	.amdhsa_kernel fft_rtc_fwd_len1560_factors_13_2_2_10_3_wgs_156_tpt_156_dp_op_CI_CI_unitstride_sbrr_C2R_dirReg
		.amdhsa_group_segment_fixed_size 0
		.amdhsa_private_segment_fixed_size 0
		.amdhsa_kernarg_size 104
		.amdhsa_user_sgpr_count 2
		.amdhsa_user_sgpr_dispatch_ptr 0
		.amdhsa_user_sgpr_queue_ptr 0
		.amdhsa_user_sgpr_kernarg_segment_ptr 1
		.amdhsa_user_sgpr_dispatch_id 0
		.amdhsa_user_sgpr_kernarg_preload_length 0
		.amdhsa_user_sgpr_kernarg_preload_offset 0
		.amdhsa_user_sgpr_private_segment_size 0
		.amdhsa_uses_dynamic_stack 0
		.amdhsa_enable_private_segment 0
		.amdhsa_system_sgpr_workgroup_id_x 1
		.amdhsa_system_sgpr_workgroup_id_y 0
		.amdhsa_system_sgpr_workgroup_id_z 0
		.amdhsa_system_sgpr_workgroup_info 0
		.amdhsa_system_vgpr_workitem_id 0
		.amdhsa_next_free_vgpr 254
		.amdhsa_next_free_sgpr 48
		.amdhsa_accum_offset 256
		.amdhsa_reserve_vcc 1
		.amdhsa_float_round_mode_32 0
		.amdhsa_float_round_mode_16_64 0
		.amdhsa_float_denorm_mode_32 3
		.amdhsa_float_denorm_mode_16_64 3
		.amdhsa_dx10_clamp 1
		.amdhsa_ieee_mode 1
		.amdhsa_fp16_overflow 0
		.amdhsa_tg_split 0
		.amdhsa_exception_fp_ieee_invalid_op 0
		.amdhsa_exception_fp_denorm_src 0
		.amdhsa_exception_fp_ieee_div_zero 0
		.amdhsa_exception_fp_ieee_overflow 0
		.amdhsa_exception_fp_ieee_underflow 0
		.amdhsa_exception_fp_ieee_inexact 0
		.amdhsa_exception_int_div_zero 0
	.end_amdhsa_kernel
	.text
.Lfunc_end0:
	.size	fft_rtc_fwd_len1560_factors_13_2_2_10_3_wgs_156_tpt_156_dp_op_CI_CI_unitstride_sbrr_C2R_dirReg, .Lfunc_end0-fft_rtc_fwd_len1560_factors_13_2_2_10_3_wgs_156_tpt_156_dp_op_CI_CI_unitstride_sbrr_C2R_dirReg
                                        ; -- End function
	.section	.AMDGPU.csdata,"",@progbits
; Kernel info:
; codeLenInByte = 11332
; NumSgprs: 54
; NumVgprs: 254
; NumAgprs: 0
; TotalNumVgprs: 254
; ScratchSize: 0
; MemoryBound: 0
; FloatMode: 240
; IeeeMode: 1
; LDSByteSize: 0 bytes/workgroup (compile time only)
; SGPRBlocks: 6
; VGPRBlocks: 31
; NumSGPRsForWavesPerEU: 54
; NumVGPRsForWavesPerEU: 254
; AccumOffset: 256
; Occupancy: 2
; WaveLimiterHint : 1
; COMPUTE_PGM_RSRC2:SCRATCH_EN: 0
; COMPUTE_PGM_RSRC2:USER_SGPR: 2
; COMPUTE_PGM_RSRC2:TRAP_HANDLER: 0
; COMPUTE_PGM_RSRC2:TGID_X_EN: 1
; COMPUTE_PGM_RSRC2:TGID_Y_EN: 0
; COMPUTE_PGM_RSRC2:TGID_Z_EN: 0
; COMPUTE_PGM_RSRC2:TIDIG_COMP_CNT: 0
; COMPUTE_PGM_RSRC3_GFX90A:ACCUM_OFFSET: 63
; COMPUTE_PGM_RSRC3_GFX90A:TG_SPLIT: 0
	.text
	.p2alignl 6, 3212836864
	.fill 256, 4, 3212836864
	.type	__hip_cuid_9a7c68467f43f99f,@object ; @__hip_cuid_9a7c68467f43f99f
	.section	.bss,"aw",@nobits
	.globl	__hip_cuid_9a7c68467f43f99f
__hip_cuid_9a7c68467f43f99f:
	.byte	0                               ; 0x0
	.size	__hip_cuid_9a7c68467f43f99f, 1

	.ident	"AMD clang version 19.0.0git (https://github.com/RadeonOpenCompute/llvm-project roc-6.4.0 25133 c7fe45cf4b819c5991fe208aaa96edf142730f1d)"
	.section	".note.GNU-stack","",@progbits
	.addrsig
	.addrsig_sym __hip_cuid_9a7c68467f43f99f
	.amdgpu_metadata
---
amdhsa.kernels:
  - .agpr_count:     0
    .args:
      - .actual_access:  read_only
        .address_space:  global
        .offset:         0
        .size:           8
        .value_kind:     global_buffer
      - .offset:         8
        .size:           8
        .value_kind:     by_value
      - .actual_access:  read_only
        .address_space:  global
        .offset:         16
        .size:           8
        .value_kind:     global_buffer
      - .actual_access:  read_only
        .address_space:  global
        .offset:         24
        .size:           8
        .value_kind:     global_buffer
      - .actual_access:  read_only
        .address_space:  global
        .offset:         32
        .size:           8
        .value_kind:     global_buffer
      - .offset:         40
        .size:           8
        .value_kind:     by_value
      - .actual_access:  read_only
        .address_space:  global
        .offset:         48
        .size:           8
        .value_kind:     global_buffer
      - .actual_access:  read_only
        .address_space:  global
        .offset:         56
        .size:           8
        .value_kind:     global_buffer
      - .offset:         64
        .size:           4
        .value_kind:     by_value
      - .actual_access:  read_only
        .address_space:  global
        .offset:         72
        .size:           8
        .value_kind:     global_buffer
      - .actual_access:  read_only
        .address_space:  global
        .offset:         80
        .size:           8
        .value_kind:     global_buffer
      - .actual_access:  read_only
        .address_space:  global
        .offset:         88
        .size:           8
        .value_kind:     global_buffer
      - .actual_access:  write_only
        .address_space:  global
        .offset:         96
        .size:           8
        .value_kind:     global_buffer
    .group_segment_fixed_size: 0
    .kernarg_segment_align: 8
    .kernarg_segment_size: 104
    .language:       OpenCL C
    .language_version:
      - 2
      - 0
    .max_flat_workgroup_size: 156
    .name:           fft_rtc_fwd_len1560_factors_13_2_2_10_3_wgs_156_tpt_156_dp_op_CI_CI_unitstride_sbrr_C2R_dirReg
    .private_segment_fixed_size: 0
    .sgpr_count:     54
    .sgpr_spill_count: 0
    .symbol:         fft_rtc_fwd_len1560_factors_13_2_2_10_3_wgs_156_tpt_156_dp_op_CI_CI_unitstride_sbrr_C2R_dirReg.kd
    .uniform_work_group_size: 1
    .uses_dynamic_stack: false
    .vgpr_count:     254
    .vgpr_spill_count: 0
    .wavefront_size: 64
amdhsa.target:   amdgcn-amd-amdhsa--gfx950
amdhsa.version:
  - 1
  - 2
...

	.end_amdgpu_metadata
